;; amdgpu-corpus repo=zjin-lcf/HeCBench kind=compiled arch=gfx906 opt=O3
	.amdgcn_target "amdgcn-amd-amdhsa--gfx906"
	.amdhsa_code_object_version 6
	.section	.text._Z18sequenceMaskKernelIiEviiiPKT_PKiS0_PS0_,"axG",@progbits,_Z18sequenceMaskKernelIiEviiiPKT_PKiS0_PS0_,comdat
	.protected	_Z18sequenceMaskKernelIiEviiiPKT_PKiS0_PS0_ ; -- Begin function _Z18sequenceMaskKernelIiEviiiPKT_PKiS0_PS0_
	.globl	_Z18sequenceMaskKernelIiEviiiPKT_PKiS0_PS0_
	.p2align	8
	.type	_Z18sequenceMaskKernelIiEviiiPKT_PKiS0_PS0_,@function
_Z18sequenceMaskKernelIiEviiiPKT_PKiS0_PS0_: ; @_Z18sequenceMaskKernelIiEviiiPKT_PKiS0_PS0_
; %bb.0:
	s_load_dwordx8 s[8:15], s[4:5], 0x0
	s_load_dword s7, s[4:5], 0x3c
	s_waitcnt lgkmcnt(0)
	s_load_dword s11, s[4:5], 0x20
	s_load_dwordx2 s[0:1], s[4:5], 0x28
	s_add_u32 s2, s4, 48
	s_addc_u32 s3, s5, 0
	s_mul_i32 s19, s9, s8
	s_and_b32 s18, s7, 0xffff
	s_mul_i32 s6, s6, s18
	s_cmp_lt_i32 s10, 0
	v_add_u32_e32 v0, s6, v0
	s_mov_b64 s[4:5], -1
	s_cbranch_scc0 .LBB0_7
; %bb.1:
	v_cmp_gt_i32_e32 vcc, s19, v0
	s_and_saveexec_b64 s[4:5], vcc
	s_cbranch_execz .LBB0_6
; %bb.2:
	s_abs_i32 s20, s9
	v_cvt_f32_u32_e32 v1, s20
	s_sub_i32 s6, 0, s20
	s_load_dword s23, s[2:3], 0x0
	s_ashr_i32 s21, s9, 31
	v_rcp_iflag_f32_e32 v1, v1
	s_sub_i32 s22, 0, s9
	v_mov_b32_e32 v4, s15
	s_waitcnt lgkmcnt(0)
	v_mov_b32_e32 v5, s1
	v_mul_f32_e32 v1, 0x4f7ffffe, v1
	v_cvt_u32_f32_e32 v1, v1
	s_mul_i32 s23, s23, s18
	v_mul_lo_u32 v2, s6, v1
	s_mov_b64 s[6:7], 0
	v_mul_hi_u32 v2, v1, v2
	v_add_u32_e32 v6, v1, v2
	v_mov_b32_e32 v1, v0
	s_branch .LBB0_4
.LBB0_3:                                ;   in Loop: Header=BB0_4 Depth=1
	s_or_b64 exec, exec, s[16:17]
	v_add_co_u32_e32 v2, vcc, s0, v2
	v_addc_co_u32_e32 v3, vcc, v5, v3, vcc
	v_add_u32_e32 v1, s23, v1
	v_cmp_le_i32_e32 vcc, s19, v1
	s_or_b64 s[6:7], vcc, s[6:7]
	s_waitcnt vmcnt(0)
	global_store_dword v[2:3], v7, off
	s_andn2_b64 exec, exec, s[6:7]
	s_cbranch_execz .LBB0_6
.LBB0_4:                                ; =>This Inner Loop Header: Depth=1
	v_sub_u32_e32 v2, 0, v1
	v_max_i32_e32 v3, v1, v2
	v_mul_hi_u32 v7, v3, v6
	v_ashrrev_i32_e32 v2, 31, v1
	v_xor_b32_e32 v9, s21, v2
	v_mul_lo_u32 v8, v7, s20
	v_add_u32_e32 v10, 1, v7
	v_sub_u32_e32 v3, v3, v8
	v_cmp_le_u32_e32 vcc, s20, v3
	v_subrev_u32_e32 v8, s20, v3
	v_cndmask_b32_e32 v7, v7, v10, vcc
	v_cndmask_b32_e32 v3, v3, v8, vcc
	v_add_u32_e32 v8, 1, v7
	v_cmp_le_u32_e32 vcc, s20, v3
	v_cndmask_b32_e32 v3, v7, v8, vcc
	v_xor_b32_e32 v3, v3, v9
	v_sub_u32_e32 v7, v3, v9
	v_ashrrev_i32_e32 v8, 31, v7
	v_lshlrev_b64 v[8:9], 2, v[7:8]
	v_add_co_u32_e32 v8, vcc, s14, v8
	v_addc_co_u32_e32 v9, vcc, v4, v9, vcc
	global_load_dword v9, v[8:9], off
	v_mad_u64_u32 v[7:8], s[16:17], s22, v7, v[1:2]
	v_lshlrev_b64 v[2:3], 2, v[1:2]
	s_waitcnt vmcnt(0)
	v_cmp_lt_i32_e32 vcc, v7, v9
	v_mov_b32_e32 v7, s11
	s_and_saveexec_b64 s[16:17], vcc
	s_cbranch_execz .LBB0_3
; %bb.5:                                ;   in Loop: Header=BB0_4 Depth=1
	v_mov_b32_e32 v8, s13
	v_add_co_u32_e32 v7, vcc, s12, v2
	v_addc_co_u32_e32 v8, vcc, v8, v3, vcc
	global_load_dword v7, v[7:8], off
	s_branch .LBB0_3
.LBB0_6:
	s_or_b64 exec, exec, s[4:5]
	s_mov_b64 s[4:5], 0
.LBB0_7:
	s_andn2_b64 vcc, exec, s[4:5]
	s_cbranch_vccnz .LBB0_13
; %bb.8:
	s_mul_i32 s6, s19, s10
	v_cmp_gt_i32_e32 vcc, s6, v0
	s_and_saveexec_b64 s[4:5], vcc
	s_cbranch_execz .LBB0_13
; %bb.9:
	s_abs_i32 s7, s9
	v_cvt_f32_u32_e32 v1, s7
	s_abs_i32 s8, s8
	v_cvt_f32_u32_e32 v2, s8
	;; [unrolled: 2-line block ×3, first 2 shown]
	v_rcp_iflag_f32_e32 v1, v1
	v_rcp_iflag_f32_e32 v2, v2
	s_load_dword s16, s[2:3], 0x0
	v_rcp_iflag_f32_e32 v3, v3
	v_mul_f32_e32 v1, 0x4f7ffffe, v1
	v_cvt_u32_f32_e32 v1, v1
	v_mul_f32_e32 v2, 0x4f7ffffe, v2
	v_cvt_u32_f32_e32 v2, v2
	;; [unrolled: 2-line block ×3, first 2 shown]
	s_sub_i32 s2, 0, s7
	v_mul_lo_u32 v4, s2, v1
	s_sub_i32 s2, 0, s8
	v_mul_lo_u32 v3, s2, v2
	;; [unrolled: 2-line block ×3, first 2 shown]
	v_mul_hi_u32 v4, v1, v4
	v_mul_hi_u32 v7, v2, v3
	s_waitcnt lgkmcnt(0)
	s_mul_i32 s16, s16, s18
	v_mul_hi_u32 v6, v5, v6
	s_ashr_i32 s17, s9, 31
	v_add_u32_e32 v3, v1, v4
	v_add_u32_e32 v4, v2, v7
	;; [unrolled: 1-line block ×3, first 2 shown]
	s_sub_i32 s18, 0, s9
	s_mov_b64 s[2:3], 0
	v_mov_b32_e32 v6, s15
	s_branch .LBB0_11
.LBB0_10:                               ;   in Loop: Header=BB0_11 Depth=1
	s_or_b64 exec, exec, s[4:5]
	v_mov_b32_e32 v8, s1
	v_add_co_u32_e32 v1, vcc, s0, v1
	v_addc_co_u32_e32 v2, vcc, v8, v2, vcc
	v_add_u32_e32 v0, s16, v0
	v_cmp_le_i32_e32 vcc, s6, v0
	s_or_b64 s[2:3], vcc, s[2:3]
	s_waitcnt vmcnt(0)
	global_store_dword v[1:2], v7, off
	s_andn2_b64 exec, exec, s[2:3]
	s_cbranch_execz .LBB0_13
.LBB0_11:                               ; =>This Inner Loop Header: Depth=1
	v_sub_u32_e32 v1, 0, v0
	v_max_i32_e32 v1, v0, v1
	v_mul_hi_u32 v2, v1, v3
	v_ashrrev_i32_e32 v8, 31, v0
	v_xor_b32_e32 v8, s17, v8
	v_mul_lo_u32 v7, v2, s7
	v_add_u32_e32 v9, 1, v2
	v_sub_u32_e32 v1, v1, v7
	v_cmp_le_u32_e32 vcc, s7, v1
	v_subrev_u32_e32 v7, s7, v1
	v_cndmask_b32_e32 v2, v2, v9, vcc
	v_cndmask_b32_e32 v1, v1, v7, vcc
	v_add_u32_e32 v7, 1, v2
	v_cmp_le_u32_e32 vcc, s7, v1
	v_cndmask_b32_e32 v1, v2, v7, vcc
	v_xor_b32_e32 v7, v1, v8
	v_sub_u32_e32 v9, v7, v8
	v_sub_u32_e32 v1, 0, v9
	v_max_i32_e32 v1, v9, v1
	v_mul_hi_u32 v2, v1, v4
	v_ashrrev_i32_e32 v10, 31, v9
	v_mul_lo_u32 v2, v2, s8
	v_sub_u32_e32 v1, v1, v2
	v_subrev_u32_e32 v2, s8, v1
	v_cmp_le_u32_e32 vcc, s8, v1
	v_cndmask_b32_e32 v1, v1, v2, vcc
	v_subrev_u32_e32 v2, s8, v1
	v_cmp_le_u32_e32 vcc, s8, v1
	v_cndmask_b32_e32 v1, v1, v2, vcc
	v_xor_b32_e32 v11, v1, v10
	v_sub_u32_e32 v1, v11, v10
	v_ashrrev_i32_e32 v2, 31, v1
	v_lshlrev_b64 v[1:2], 2, v[1:2]
	v_add_co_u32_e32 v1, vcc, s14, v1
	v_addc_co_u32_e32 v2, vcc, v6, v2, vcc
	global_load_dword v12, v[1:2], off
	v_add_u32_e32 v1, v11, v8
	v_sub_u32_e32 v1, v1, v7
	v_sub_u32_e32 v1, v1, v10
	v_mad_u64_u32 v[1:2], s[4:5], s9, v1, v[0:1]
	v_sub_u32_e32 v1, v0, v1
	v_sub_u32_e32 v2, 0, v1
	v_max_i32_e32 v2, v1, v2
	v_mul_hi_u32 v7, v2, v5
	v_mul_lo_u32 v10, v7, s10
	v_mad_u64_u32 v[7:8], s[4:5], s18, v9, v[0:1]
	v_ashrrev_i32_e32 v1, 31, v1
	v_sub_u32_e32 v2, v2, v10
	v_subrev_u32_e32 v8, s10, v2
	v_cmp_le_u32_e32 vcc, s10, v2
	v_cndmask_b32_e32 v2, v2, v8, vcc
	v_subrev_u32_e32 v8, s10, v2
	v_cmp_le_u32_e32 vcc, s10, v2
	v_cndmask_b32_e32 v2, v2, v8, vcc
	v_xor_b32_e32 v2, v2, v1
	v_sub_u32_e32 v1, v1, v2
	v_add_u32_e32 v1, v0, v1
	v_ashrrev_i32_e32 v2, 31, v1
	v_lshlrev_b64 v[1:2], 2, v[1:2]
	s_waitcnt vmcnt(0)
	v_cmp_lt_i32_e32 vcc, v7, v12
	v_mov_b32_e32 v7, s11
	s_and_saveexec_b64 s[4:5], vcc
	s_cbranch_execz .LBB0_10
; %bb.12:                               ;   in Loop: Header=BB0_11 Depth=1
	v_mov_b32_e32 v8, s13
	v_add_co_u32_e32 v7, vcc, s12, v1
	v_addc_co_u32_e32 v8, vcc, v8, v2, vcc
	global_load_dword v7, v[7:8], off
	s_branch .LBB0_10
.LBB0_13:
	s_endpgm
	.section	.rodata,"a",@progbits
	.p2align	6, 0x0
	.amdhsa_kernel _Z18sequenceMaskKernelIiEviiiPKT_PKiS0_PS0_
		.amdhsa_group_segment_fixed_size 0
		.amdhsa_private_segment_fixed_size 0
		.amdhsa_kernarg_size 304
		.amdhsa_user_sgpr_count 6
		.amdhsa_user_sgpr_private_segment_buffer 1
		.amdhsa_user_sgpr_dispatch_ptr 0
		.amdhsa_user_sgpr_queue_ptr 0
		.amdhsa_user_sgpr_kernarg_segment_ptr 1
		.amdhsa_user_sgpr_dispatch_id 0
		.amdhsa_user_sgpr_flat_scratch_init 0
		.amdhsa_user_sgpr_private_segment_size 0
		.amdhsa_uses_dynamic_stack 0
		.amdhsa_system_sgpr_private_segment_wavefront_offset 0
		.amdhsa_system_sgpr_workgroup_id_x 1
		.amdhsa_system_sgpr_workgroup_id_y 0
		.amdhsa_system_sgpr_workgroup_id_z 0
		.amdhsa_system_sgpr_workgroup_info 0
		.amdhsa_system_vgpr_workitem_id 0
		.amdhsa_next_free_vgpr 13
		.amdhsa_next_free_sgpr 24
		.amdhsa_reserve_vcc 1
		.amdhsa_reserve_flat_scratch 0
		.amdhsa_float_round_mode_32 0
		.amdhsa_float_round_mode_16_64 0
		.amdhsa_float_denorm_mode_32 3
		.amdhsa_float_denorm_mode_16_64 3
		.amdhsa_dx10_clamp 1
		.amdhsa_ieee_mode 1
		.amdhsa_fp16_overflow 0
		.amdhsa_exception_fp_ieee_invalid_op 0
		.amdhsa_exception_fp_denorm_src 0
		.amdhsa_exception_fp_ieee_div_zero 0
		.amdhsa_exception_fp_ieee_overflow 0
		.amdhsa_exception_fp_ieee_underflow 0
		.amdhsa_exception_fp_ieee_inexact 0
		.amdhsa_exception_int_div_zero 0
	.end_amdhsa_kernel
	.section	.text._Z18sequenceMaskKernelIiEviiiPKT_PKiS0_PS0_,"axG",@progbits,_Z18sequenceMaskKernelIiEviiiPKT_PKiS0_PS0_,comdat
.Lfunc_end0:
	.size	_Z18sequenceMaskKernelIiEviiiPKT_PKiS0_PS0_, .Lfunc_end0-_Z18sequenceMaskKernelIiEviiiPKT_PKiS0_PS0_
                                        ; -- End function
	.set _Z18sequenceMaskKernelIiEviiiPKT_PKiS0_PS0_.num_vgpr, 13
	.set _Z18sequenceMaskKernelIiEviiiPKT_PKiS0_PS0_.num_agpr, 0
	.set _Z18sequenceMaskKernelIiEviiiPKT_PKiS0_PS0_.numbered_sgpr, 24
	.set _Z18sequenceMaskKernelIiEviiiPKT_PKiS0_PS0_.num_named_barrier, 0
	.set _Z18sequenceMaskKernelIiEviiiPKT_PKiS0_PS0_.private_seg_size, 0
	.set _Z18sequenceMaskKernelIiEviiiPKT_PKiS0_PS0_.uses_vcc, 1
	.set _Z18sequenceMaskKernelIiEviiiPKT_PKiS0_PS0_.uses_flat_scratch, 0
	.set _Z18sequenceMaskKernelIiEviiiPKT_PKiS0_PS0_.has_dyn_sized_stack, 0
	.set _Z18sequenceMaskKernelIiEviiiPKT_PKiS0_PS0_.has_recursion, 0
	.set _Z18sequenceMaskKernelIiEviiiPKT_PKiS0_PS0_.has_indirect_call, 0
	.section	.AMDGPU.csdata,"",@progbits
; Kernel info:
; codeLenInByte = 976
; TotalNumSgprs: 28
; NumVgprs: 13
; ScratchSize: 0
; MemoryBound: 0
; FloatMode: 240
; IeeeMode: 1
; LDSByteSize: 0 bytes/workgroup (compile time only)
; SGPRBlocks: 3
; VGPRBlocks: 3
; NumSGPRsForWavesPerEU: 28
; NumVGPRsForWavesPerEU: 13
; Occupancy: 10
; WaveLimiterHint : 0
; COMPUTE_PGM_RSRC2:SCRATCH_EN: 0
; COMPUTE_PGM_RSRC2:USER_SGPR: 6
; COMPUTE_PGM_RSRC2:TRAP_HANDLER: 0
; COMPUTE_PGM_RSRC2:TGID_X_EN: 1
; COMPUTE_PGM_RSRC2:TGID_Y_EN: 0
; COMPUTE_PGM_RSRC2:TGID_Z_EN: 0
; COMPUTE_PGM_RSRC2:TIDIG_COMP_CNT: 0
	.section	.text._Z16windowMaskKernelIiEviiiPKT_PKiiS0_PS0_,"axG",@progbits,_Z16windowMaskKernelIiEviiiPKT_PKiiS0_PS0_,comdat
	.protected	_Z16windowMaskKernelIiEviiiPKT_PKiiS0_PS0_ ; -- Begin function _Z16windowMaskKernelIiEviiiPKT_PKiiS0_PS0_
	.globl	_Z16windowMaskKernelIiEviiiPKT_PKiiS0_PS0_
	.p2align	8
	.type	_Z16windowMaskKernelIiEviiiPKT_PKiiS0_PS0_,@function
_Z16windowMaskKernelIiEviiiPKT_PKiiS0_PS0_: ; @_Z16windowMaskKernelIiEviiiPKT_PKiiS0_PS0_
; %bb.0:
	s_load_dword s0, s[4:5], 0x3c
	s_load_dwordx8 s[8:15], s[4:5], 0x0
	s_load_dwordx4 s[16:19], s[4:5], 0x20
	s_add_u32 s2, s4, 48
	s_addc_u32 s3, s5, 0
	s_waitcnt lgkmcnt(0)
	s_and_b32 s11, s0, 0xffff
	s_mul_i32 s6, s6, s11
	s_cmp_lt_i32 s10, 0
	v_add_u32_e32 v0, s6, v0
	s_mul_i32 s20, s9, s8
	s_mov_b64 s[0:1], -1
	s_cbranch_scc0 .LBB1_7
; %bb.1:
	v_cmp_gt_i32_e32 vcc, s20, v0
	s_and_saveexec_b64 s[4:5], vcc
	s_cbranch_execz .LBB1_6
; %bb.2:
	s_abs_i32 s21, s9
	v_cvt_f32_u32_e32 v1, s21
	s_sub_i32 s0, 0, s21
	s_load_dword s24, s[2:3], 0x0
	s_ashr_i32 s22, s9, 31
	v_rcp_iflag_f32_e32 v1, v1
	s_sub_i32 s23, 0, s9
	s_mov_b64 s[6:7], 0
	v_mov_b32_e32 v4, s15
	v_mul_f32_e32 v1, 0x4f7ffffe, v1
	v_cvt_u32_f32_e32 v1, v1
	v_mov_b32_e32 v5, s19
	s_waitcnt lgkmcnt(0)
	s_mul_i32 s24, s24, s11
	v_mul_lo_u32 v2, s0, v1
	v_mul_hi_u32 v2, v1, v2
	v_add_u32_e32 v6, v1, v2
	v_mov_b32_e32 v1, v0
	s_branch .LBB1_4
.LBB1_3:                                ;   in Loop: Header=BB1_4 Depth=1
	s_or_b64 exec, exec, s[0:1]
	v_add_co_u32_e32 v2, vcc, s18, v2
	v_addc_co_u32_e32 v3, vcc, v5, v3, vcc
	v_add_u32_e32 v1, s24, v1
	v_cmp_le_i32_e32 vcc, s20, v1
	s_or_b64 s[6:7], vcc, s[6:7]
	s_waitcnt vmcnt(0)
	global_store_dword v[2:3], v7, off
	s_andn2_b64 exec, exec, s[6:7]
	s_cbranch_execz .LBB1_6
.LBB1_4:                                ; =>This Inner Loop Header: Depth=1
	v_sub_u32_e32 v2, 0, v1
	v_max_i32_e32 v3, v1, v2
	v_mul_hi_u32 v7, v3, v6
	v_ashrrev_i32_e32 v2, 31, v1
	v_xor_b32_e32 v9, s22, v2
	v_mul_lo_u32 v8, v7, s21
	v_add_u32_e32 v10, 1, v7
	v_sub_u32_e32 v3, v3, v8
	v_cmp_le_u32_e32 vcc, s21, v3
	v_subrev_u32_e32 v8, s21, v3
	v_cndmask_b32_e32 v7, v7, v10, vcc
	v_cndmask_b32_e32 v3, v3, v8, vcc
	v_add_u32_e32 v8, 1, v7
	v_cmp_le_u32_e32 vcc, s21, v3
	v_cndmask_b32_e32 v3, v7, v8, vcc
	v_xor_b32_e32 v3, v3, v9
	v_sub_u32_e32 v7, v3, v9
	v_ashrrev_i32_e32 v8, 31, v7
	v_lshlrev_b64 v[8:9], 2, v[7:8]
	v_add_co_u32_e32 v8, vcc, s14, v8
	v_addc_co_u32_e32 v9, vcc, v4, v9, vcc
	global_load_dword v9, v[8:9], off
	v_mad_u64_u32 v[7:8], s[0:1], s23, v7, v[1:2]
	v_lshlrev_b64 v[2:3], 2, v[1:2]
	s_waitcnt vmcnt(0)
	v_subrev_u32_e32 v8, s16, v9
	v_add_u32_e32 v9, s16, v9
	v_cmp_ge_i32_e32 vcc, v7, v8
	v_cmp_le_i32_e64 s[0:1], v7, v9
	s_and_b64 s[26:27], vcc, s[0:1]
	v_mov_b32_e32 v7, s17
	s_and_saveexec_b64 s[0:1], s[26:27]
	s_cbranch_execz .LBB1_3
; %bb.5:                                ;   in Loop: Header=BB1_4 Depth=1
	v_mov_b32_e32 v8, s13
	v_add_co_u32_e32 v7, vcc, s12, v2
	v_addc_co_u32_e32 v8, vcc, v8, v3, vcc
	global_load_dword v7, v[7:8], off
	s_branch .LBB1_3
.LBB1_6:
	s_or_b64 exec, exec, s[4:5]
	s_mov_b64 s[0:1], 0
.LBB1_7:
	s_andn2_b64 vcc, exec, s[0:1]
	s_cbranch_vccnz .LBB1_13
; %bb.8:
	s_mul_i32 s4, s20, s10
	v_cmp_gt_i32_e32 vcc, s4, v0
	s_and_saveexec_b64 s[0:1], vcc
	s_cbranch_execz .LBB1_13
; %bb.9:
	s_abs_i32 s5, s9
	v_cvt_f32_u32_e32 v1, s5
	s_abs_i32 s6, s8
	v_cvt_f32_u32_e32 v2, s6
	;; [unrolled: 2-line block ×3, first 2 shown]
	v_rcp_iflag_f32_e32 v1, v1
	v_rcp_iflag_f32_e32 v2, v2
	s_sub_i32 s1, 0, s5
	v_rcp_iflag_f32_e32 v3, v3
	v_mul_f32_e32 v1, 0x4f7ffffe, v1
	v_cvt_u32_f32_e32 v1, v1
	v_mul_f32_e32 v2, 0x4f7ffffe, v2
	v_cvt_u32_f32_e32 v2, v2
	;; [unrolled: 2-line block ×3, first 2 shown]
	v_mul_lo_u32 v4, s1, v1
	s_sub_i32 s1, 0, s6
	v_mul_lo_u32 v3, s1, v2
	s_sub_i32 s1, 0, s7
	v_mul_lo_u32 v6, s1, v5
	s_load_dword s0, s[2:3], 0x0
	v_mul_hi_u32 v4, v1, v4
	v_mul_hi_u32 v7, v2, v3
	;; [unrolled: 1-line block ×3, first 2 shown]
	s_ashr_i32 s10, s9, 31
	s_waitcnt lgkmcnt(0)
	s_mul_i32 s8, s0, s11
	v_add_u32_e32 v3, v1, v4
	v_add_u32_e32 v4, v2, v7
	;; [unrolled: 1-line block ×3, first 2 shown]
	s_sub_i32 s11, 0, s9
	s_mov_b64 s[2:3], 0
	v_mov_b32_e32 v6, s15
	s_branch .LBB1_11
.LBB1_10:                               ;   in Loop: Header=BB1_11 Depth=1
	s_or_b64 exec, exec, s[0:1]
	v_mov_b32_e32 v8, s19
	v_add_co_u32_e32 v1, vcc, s18, v1
	v_addc_co_u32_e32 v2, vcc, v8, v2, vcc
	v_add_u32_e32 v0, s8, v0
	v_cmp_le_i32_e32 vcc, s4, v0
	s_or_b64 s[2:3], vcc, s[2:3]
	s_waitcnt vmcnt(0)
	global_store_dword v[1:2], v7, off
	s_andn2_b64 exec, exec, s[2:3]
	s_cbranch_execz .LBB1_13
.LBB1_11:                               ; =>This Inner Loop Header: Depth=1
	v_sub_u32_e32 v1, 0, v0
	v_max_i32_e32 v1, v0, v1
	v_mul_hi_u32 v2, v1, v3
	v_ashrrev_i32_e32 v8, 31, v0
	v_xor_b32_e32 v8, s10, v8
	v_mul_lo_u32 v7, v2, s5
	v_add_u32_e32 v9, 1, v2
	v_sub_u32_e32 v1, v1, v7
	v_cmp_le_u32_e32 vcc, s5, v1
	v_subrev_u32_e32 v7, s5, v1
	v_cndmask_b32_e32 v2, v2, v9, vcc
	v_cndmask_b32_e32 v1, v1, v7, vcc
	v_add_u32_e32 v7, 1, v2
	v_cmp_le_u32_e32 vcc, s5, v1
	v_cndmask_b32_e32 v1, v2, v7, vcc
	v_xor_b32_e32 v7, v1, v8
	v_sub_u32_e32 v9, v7, v8
	v_sub_u32_e32 v1, 0, v9
	v_max_i32_e32 v1, v9, v1
	v_mul_hi_u32 v2, v1, v4
	v_ashrrev_i32_e32 v10, 31, v9
	v_mul_lo_u32 v2, v2, s6
	v_sub_u32_e32 v1, v1, v2
	v_subrev_u32_e32 v2, s6, v1
	v_cmp_le_u32_e32 vcc, s6, v1
	v_cndmask_b32_e32 v1, v1, v2, vcc
	v_subrev_u32_e32 v2, s6, v1
	v_cmp_le_u32_e32 vcc, s6, v1
	v_cndmask_b32_e32 v1, v1, v2, vcc
	v_xor_b32_e32 v11, v1, v10
	v_sub_u32_e32 v1, v11, v10
	v_ashrrev_i32_e32 v2, 31, v1
	v_lshlrev_b64 v[1:2], 2, v[1:2]
	v_add_co_u32_e32 v1, vcc, s14, v1
	v_addc_co_u32_e32 v2, vcc, v6, v2, vcc
	global_load_dword v12, v[1:2], off
	v_add_u32_e32 v1, v11, v8
	v_sub_u32_e32 v1, v1, v7
	v_sub_u32_e32 v1, v1, v10
	v_mad_u64_u32 v[1:2], s[0:1], s9, v1, v[0:1]
	v_sub_u32_e32 v1, v0, v1
	v_sub_u32_e32 v2, 0, v1
	v_max_i32_e32 v2, v1, v2
	v_mul_hi_u32 v7, v2, v5
	v_mul_lo_u32 v10, v7, s7
	v_mad_u64_u32 v[7:8], s[0:1], s11, v9, v[0:1]
	v_ashrrev_i32_e32 v1, 31, v1
	v_sub_u32_e32 v2, v2, v10
	v_subrev_u32_e32 v8, s7, v2
	v_cmp_le_u32_e32 vcc, s7, v2
	v_cndmask_b32_e32 v2, v2, v8, vcc
	v_subrev_u32_e32 v8, s7, v2
	v_cmp_le_u32_e32 vcc, s7, v2
	v_cndmask_b32_e32 v2, v2, v8, vcc
	v_xor_b32_e32 v2, v2, v1
	v_sub_u32_e32 v1, v1, v2
	v_add_u32_e32 v1, v0, v1
	v_ashrrev_i32_e32 v2, 31, v1
	v_lshlrev_b64 v[1:2], 2, v[1:2]
	s_waitcnt vmcnt(0)
	v_subrev_u32_e32 v8, s16, v12
	v_add_u32_e32 v9, s16, v12
	v_cmp_ge_i32_e32 vcc, v7, v8
	v_cmp_le_i32_e64 s[0:1], v7, v9
	s_and_b64 s[20:21], vcc, s[0:1]
	v_mov_b32_e32 v7, s17
	s_and_saveexec_b64 s[0:1], s[20:21]
	s_cbranch_execz .LBB1_10
; %bb.12:                               ;   in Loop: Header=BB1_11 Depth=1
	v_mov_b32_e32 v8, s13
	v_add_co_u32_e32 v7, vcc, s12, v1
	v_addc_co_u32_e32 v8, vcc, v8, v2, vcc
	global_load_dword v7, v[7:8], off
	s_branch .LBB1_10
.LBB1_13:
	s_endpgm
	.section	.rodata,"a",@progbits
	.p2align	6, 0x0
	.amdhsa_kernel _Z16windowMaskKernelIiEviiiPKT_PKiiS0_PS0_
		.amdhsa_group_segment_fixed_size 0
		.amdhsa_private_segment_fixed_size 0
		.amdhsa_kernarg_size 304
		.amdhsa_user_sgpr_count 6
		.amdhsa_user_sgpr_private_segment_buffer 1
		.amdhsa_user_sgpr_dispatch_ptr 0
		.amdhsa_user_sgpr_queue_ptr 0
		.amdhsa_user_sgpr_kernarg_segment_ptr 1
		.amdhsa_user_sgpr_dispatch_id 0
		.amdhsa_user_sgpr_flat_scratch_init 0
		.amdhsa_user_sgpr_private_segment_size 0
		.amdhsa_uses_dynamic_stack 0
		.amdhsa_system_sgpr_private_segment_wavefront_offset 0
		.amdhsa_system_sgpr_workgroup_id_x 1
		.amdhsa_system_sgpr_workgroup_id_y 0
		.amdhsa_system_sgpr_workgroup_id_z 0
		.amdhsa_system_sgpr_workgroup_info 0
		.amdhsa_system_vgpr_workitem_id 0
		.amdhsa_next_free_vgpr 13
		.amdhsa_next_free_sgpr 28
		.amdhsa_reserve_vcc 1
		.amdhsa_reserve_flat_scratch 0
		.amdhsa_float_round_mode_32 0
		.amdhsa_float_round_mode_16_64 0
		.amdhsa_float_denorm_mode_32 3
		.amdhsa_float_denorm_mode_16_64 3
		.amdhsa_dx10_clamp 1
		.amdhsa_ieee_mode 1
		.amdhsa_fp16_overflow 0
		.amdhsa_exception_fp_ieee_invalid_op 0
		.amdhsa_exception_fp_denorm_src 0
		.amdhsa_exception_fp_ieee_div_zero 0
		.amdhsa_exception_fp_ieee_overflow 0
		.amdhsa_exception_fp_ieee_underflow 0
		.amdhsa_exception_fp_ieee_inexact 0
		.amdhsa_exception_int_div_zero 0
	.end_amdhsa_kernel
	.section	.text._Z16windowMaskKernelIiEviiiPKT_PKiiS0_PS0_,"axG",@progbits,_Z16windowMaskKernelIiEviiiPKT_PKiiS0_PS0_,comdat
.Lfunc_end1:
	.size	_Z16windowMaskKernelIiEviiiPKT_PKiiS0_PS0_, .Lfunc_end1-_Z16windowMaskKernelIiEviiiPKT_PKiiS0_PS0_
                                        ; -- End function
	.set _Z16windowMaskKernelIiEviiiPKT_PKiiS0_PS0_.num_vgpr, 13
	.set _Z16windowMaskKernelIiEviiiPKT_PKiiS0_PS0_.num_agpr, 0
	.set _Z16windowMaskKernelIiEviiiPKT_PKiiS0_PS0_.numbered_sgpr, 28
	.set _Z16windowMaskKernelIiEviiiPKT_PKiiS0_PS0_.num_named_barrier, 0
	.set _Z16windowMaskKernelIiEviiiPKT_PKiiS0_PS0_.private_seg_size, 0
	.set _Z16windowMaskKernelIiEviiiPKT_PKiiS0_PS0_.uses_vcc, 1
	.set _Z16windowMaskKernelIiEviiiPKT_PKiiS0_PS0_.uses_flat_scratch, 0
	.set _Z16windowMaskKernelIiEviiiPKT_PKiiS0_PS0_.has_dyn_sized_stack, 0
	.set _Z16windowMaskKernelIiEviiiPKT_PKiiS0_PS0_.has_recursion, 0
	.set _Z16windowMaskKernelIiEviiiPKT_PKiiS0_PS0_.has_indirect_call, 0
	.section	.AMDGPU.csdata,"",@progbits
; Kernel info:
; codeLenInByte = 1008
; TotalNumSgprs: 32
; NumVgprs: 13
; ScratchSize: 0
; MemoryBound: 0
; FloatMode: 240
; IeeeMode: 1
; LDSByteSize: 0 bytes/workgroup (compile time only)
; SGPRBlocks: 3
; VGPRBlocks: 3
; NumSGPRsForWavesPerEU: 32
; NumVGPRsForWavesPerEU: 13
; Occupancy: 10
; WaveLimiterHint : 0
; COMPUTE_PGM_RSRC2:SCRATCH_EN: 0
; COMPUTE_PGM_RSRC2:USER_SGPR: 6
; COMPUTE_PGM_RSRC2:TRAP_HANDLER: 0
; COMPUTE_PGM_RSRC2:TGID_X_EN: 1
; COMPUTE_PGM_RSRC2:TGID_Y_EN: 0
; COMPUTE_PGM_RSRC2:TGID_Z_EN: 0
; COMPUTE_PGM_RSRC2:TIDIG_COMP_CNT: 0
	.section	.text._Z15upperMaskKernelIiEviiiPKT_S0_PS0_,"axG",@progbits,_Z15upperMaskKernelIiEviiiPKT_S0_PS0_,comdat
	.protected	_Z15upperMaskKernelIiEviiiPKT_S0_PS0_ ; -- Begin function _Z15upperMaskKernelIiEviiiPKT_S0_PS0_
	.globl	_Z15upperMaskKernelIiEviiiPKT_S0_PS0_
	.p2align	8
	.type	_Z15upperMaskKernelIiEviiiPKT_S0_PS0_,@function
_Z15upperMaskKernelIiEviiiPKT_S0_PS0_:  ; @_Z15upperMaskKernelIiEviiiPKT_S0_PS0_
; %bb.0:
	s_load_dword s16, s[4:5], 0x18
	s_load_dwordx2 s[8:9], s[4:5], 0x20
	s_load_dword s7, s[4:5], 0x34
	s_load_dwordx4 s[0:3], s[4:5], 0x0
	s_load_dwordx2 s[10:11], s[4:5], 0x10
	s_add_u32 s4, s4, 40
	s_addc_u32 s5, s5, 0
	s_waitcnt lgkmcnt(0)
	s_and_b32 s3, s7, 0xffff
	s_mul_i32 s6, s6, s3
	s_cmp_lt_i32 s2, 0
	v_add_u32_e32 v0, s6, v0
	s_mul_i32 s17, s1, s0
	s_mov_b64 s[6:7], -1
	s_cbranch_scc0 .LBB2_7
; %bb.1:
	v_cmp_gt_i32_e32 vcc, s17, v0
	s_and_saveexec_b64 s[6:7], vcc
	s_cbranch_execz .LBB2_6
; %bb.2:
	s_abs_i32 s18, s1
	v_cvt_f32_u32_e32 v1, s18
	s_sub_i32 s12, 0, s18
	s_load_dword s21, s[4:5], 0x0
	s_ashr_i32 s19, s1, 31
	v_rcp_iflag_f32_e32 v1, v1
	s_sub_i32 s20, 0, s1
	v_mov_b32_e32 v4, s9
	s_waitcnt lgkmcnt(0)
	s_mul_i32 s21, s21, s3
	v_mul_f32_e32 v1, 0x4f7ffffe, v1
	v_cvt_u32_f32_e32 v1, v1
	v_mul_lo_u32 v2, s12, v1
	s_mov_b64 s[12:13], 0
	v_mul_hi_u32 v2, v1, v2
	v_add_u32_e32 v5, v1, v2
	v_mov_b32_e32 v1, v0
	s_branch .LBB2_4
.LBB2_3:                                ;   in Loop: Header=BB2_4 Depth=1
	s_or_b64 exec, exec, s[14:15]
	v_add_co_u32_e32 v2, vcc, s8, v2
	v_addc_co_u32_e32 v3, vcc, v4, v3, vcc
	v_add_u32_e32 v1, s21, v1
	v_cmp_le_i32_e32 vcc, s17, v1
	s_or_b64 s[12:13], vcc, s[12:13]
	s_waitcnt vmcnt(0)
	global_store_dword v[2:3], v6, off
	s_andn2_b64 exec, exec, s[12:13]
	s_cbranch_execz .LBB2_6
.LBB2_4:                                ; =>This Inner Loop Header: Depth=1
	v_sub_u32_e32 v2, 0, v1
	v_max_i32_e32 v3, v1, v2
	v_mul_hi_u32 v6, v3, v5
	v_ashrrev_i32_e32 v2, 31, v1
	v_xor_b32_e32 v8, s19, v2
	v_mul_lo_u32 v7, v6, s18
	v_add_u32_e32 v9, 1, v6
	v_sub_u32_e32 v3, v3, v7
	v_cmp_le_u32_e32 vcc, s18, v3
	v_subrev_u32_e32 v7, s18, v3
	v_cndmask_b32_e32 v6, v6, v9, vcc
	v_cndmask_b32_e32 v3, v3, v7, vcc
	v_add_u32_e32 v7, 1, v6
	v_cmp_le_u32_e32 vcc, s18, v3
	v_cndmask_b32_e32 v3, v6, v7, vcc
	v_xor_b32_e32 v3, v3, v8
	v_sub_u32_e32 v8, v3, v8
	v_mad_u64_u32 v[6:7], s[14:15], s20, v8, v[1:2]
	v_lshlrev_b64 v[2:3], 2, v[1:2]
	v_cmp_le_i32_e32 vcc, v6, v8
	v_mov_b32_e32 v6, s16
	s_and_saveexec_b64 s[14:15], vcc
	s_cbranch_execz .LBB2_3
; %bb.5:                                ;   in Loop: Header=BB2_4 Depth=1
	v_mov_b32_e32 v7, s11
	v_add_co_u32_e32 v6, vcc, s10, v2
	v_addc_co_u32_e32 v7, vcc, v7, v3, vcc
	global_load_dword v6, v[6:7], off
	s_branch .LBB2_3
.LBB2_6:
	s_or_b64 exec, exec, s[6:7]
	s_mov_b64 s[6:7], 0
.LBB2_7:
	s_andn2_b64 vcc, exec, s[6:7]
	s_cbranch_vccnz .LBB2_13
; %bb.8:
	s_mul_i32 s6, s17, s2
	v_cmp_gt_i32_e32 vcc, s6, v0
	s_and_saveexec_b64 s[12:13], vcc
	s_cbranch_execz .LBB2_13
; %bb.9:
	s_abs_i32 s7, s1
	v_cvt_f32_u32_e32 v1, s7
	s_abs_i32 s0, s0
	v_cvt_f32_u32_e32 v2, s0
	;; [unrolled: 2-line block ×3, first 2 shown]
	v_rcp_iflag_f32_e32 v1, v1
	v_rcp_iflag_f32_e32 v2, v2
	s_sub_i32 s2, 0, s7
	v_rcp_iflag_f32_e32 v3, v3
	v_mul_f32_e32 v1, 0x4f7ffffe, v1
	v_cvt_u32_f32_e32 v1, v1
	v_mul_f32_e32 v2, 0x4f7ffffe, v2
	v_cvt_u32_f32_e32 v2, v2
	;; [unrolled: 2-line block ×3, first 2 shown]
	v_mul_lo_u32 v4, s2, v1
	s_sub_i32 s2, 0, s0
	v_mul_lo_u32 v3, s2, v2
	s_sub_i32 s2, 0, s12
	v_mul_lo_u32 v6, s2, v5
	s_load_dword s13, s[4:5], 0x0
	v_mul_hi_u32 v4, v1, v4
	v_mul_hi_u32 v7, v2, v3
	;; [unrolled: 1-line block ×3, first 2 shown]
	s_ashr_i32 s14, s1, 31
	s_waitcnt lgkmcnt(0)
	s_mul_i32 s13, s13, s3
	v_add_u32_e32 v3, v1, v4
	v_add_u32_e32 v4, v2, v7
	;; [unrolled: 1-line block ×3, first 2 shown]
	s_sub_i32 s15, 0, s1
	s_mov_b64 s[2:3], 0
	v_mov_b32_e32 v6, s9
	s_branch .LBB2_11
.LBB2_10:                               ;   in Loop: Header=BB2_11 Depth=1
	s_or_b64 exec, exec, s[4:5]
	v_add_co_u32_e32 v1, vcc, s8, v1
	v_addc_co_u32_e32 v2, vcc, v6, v2, vcc
	v_add_u32_e32 v0, s13, v0
	v_cmp_le_i32_e32 vcc, s6, v0
	s_or_b64 s[2:3], vcc, s[2:3]
	s_waitcnt vmcnt(0)
	global_store_dword v[1:2], v7, off
	s_andn2_b64 exec, exec, s[2:3]
	s_cbranch_execz .LBB2_13
.LBB2_11:                               ; =>This Inner Loop Header: Depth=1
	v_sub_u32_e32 v1, 0, v0
	v_max_i32_e32 v1, v0, v1
	v_mul_hi_u32 v2, v1, v3
	v_ashrrev_i32_e32 v8, 31, v0
	v_xor_b32_e32 v8, s14, v8
	v_mul_lo_u32 v7, v2, s7
	v_add_u32_e32 v9, 1, v2
	v_sub_u32_e32 v1, v1, v7
	v_cmp_le_u32_e32 vcc, s7, v1
	v_subrev_u32_e32 v7, s7, v1
	v_cndmask_b32_e32 v2, v2, v9, vcc
	v_cndmask_b32_e32 v1, v1, v7, vcc
	v_add_u32_e32 v7, 1, v2
	v_cmp_le_u32_e32 vcc, s7, v1
	v_cndmask_b32_e32 v1, v2, v7, vcc
	v_xor_b32_e32 v1, v1, v8
	v_sub_u32_e32 v7, v1, v8
	v_sub_u32_e32 v2, 0, v7
	v_max_i32_e32 v2, v7, v2
	v_mul_hi_u32 v9, v2, v4
	v_ashrrev_i32_e32 v10, 31, v7
	v_mul_lo_u32 v9, v9, s0
	v_sub_u32_e32 v2, v2, v9
	v_subrev_u32_e32 v9, s0, v2
	v_cmp_le_u32_e32 vcc, s0, v2
	v_cndmask_b32_e32 v2, v2, v9, vcc
	v_subrev_u32_e32 v9, s0, v2
	v_cmp_le_u32_e32 vcc, s0, v2
	v_cndmask_b32_e32 v2, v2, v9, vcc
	v_xor_b32_e32 v9, v2, v10
	v_add_u32_e32 v2, v9, v8
	v_sub_u32_e32 v1, v2, v1
	v_sub_u32_e32 v1, v1, v10
	v_mad_u64_u32 v[1:2], s[4:5], s1, v1, v[0:1]
	v_sub_u32_e32 v8, v0, v1
	v_sub_u32_e32 v1, 0, v8
	v_max_i32_e32 v11, v8, v1
	v_mul_hi_u32 v1, v11, v5
	v_mul_lo_u32 v12, v1, s12
	v_mad_u64_u32 v[1:2], s[4:5], s15, v7, v[0:1]
	v_ashrrev_i32_e32 v7, 31, v8
	v_sub_u32_e32 v8, v11, v12
	v_sub_u32_e32 v2, v9, v10
	v_subrev_u32_e32 v9, s12, v8
	v_cmp_le_u32_e32 vcc, s12, v8
	v_cndmask_b32_e32 v8, v8, v9, vcc
	v_subrev_u32_e32 v9, s12, v8
	v_cmp_le_u32_e32 vcc, s12, v8
	v_cndmask_b32_e32 v8, v8, v9, vcc
	v_xor_b32_e32 v8, v8, v7
	v_sub_u32_e32 v7, v7, v8
	v_add_u32_e32 v7, v0, v7
	v_ashrrev_i32_e32 v8, 31, v7
	v_cmp_le_i32_e32 vcc, v1, v2
	v_lshlrev_b64 v[1:2], 2, v[7:8]
	v_mov_b32_e32 v7, s16
	s_and_saveexec_b64 s[4:5], vcc
	s_cbranch_execz .LBB2_10
; %bb.12:                               ;   in Loop: Header=BB2_11 Depth=1
	v_mov_b32_e32 v8, s11
	v_add_co_u32_e32 v7, vcc, s10, v1
	v_addc_co_u32_e32 v8, vcc, v8, v2, vcc
	global_load_dword v7, v[7:8], off
	s_branch .LBB2_10
.LBB2_13:
	s_endpgm
	.section	.rodata,"a",@progbits
	.p2align	6, 0x0
	.amdhsa_kernel _Z15upperMaskKernelIiEviiiPKT_S0_PS0_
		.amdhsa_group_segment_fixed_size 0
		.amdhsa_private_segment_fixed_size 0
		.amdhsa_kernarg_size 296
		.amdhsa_user_sgpr_count 6
		.amdhsa_user_sgpr_private_segment_buffer 1
		.amdhsa_user_sgpr_dispatch_ptr 0
		.amdhsa_user_sgpr_queue_ptr 0
		.amdhsa_user_sgpr_kernarg_segment_ptr 1
		.amdhsa_user_sgpr_dispatch_id 0
		.amdhsa_user_sgpr_flat_scratch_init 0
		.amdhsa_user_sgpr_private_segment_size 0
		.amdhsa_uses_dynamic_stack 0
		.amdhsa_system_sgpr_private_segment_wavefront_offset 0
		.amdhsa_system_sgpr_workgroup_id_x 1
		.amdhsa_system_sgpr_workgroup_id_y 0
		.amdhsa_system_sgpr_workgroup_id_z 0
		.amdhsa_system_sgpr_workgroup_info 0
		.amdhsa_system_vgpr_workitem_id 0
		.amdhsa_next_free_vgpr 13
		.amdhsa_next_free_sgpr 22
		.amdhsa_reserve_vcc 1
		.amdhsa_reserve_flat_scratch 0
		.amdhsa_float_round_mode_32 0
		.amdhsa_float_round_mode_16_64 0
		.amdhsa_float_denorm_mode_32 3
		.amdhsa_float_denorm_mode_16_64 3
		.amdhsa_dx10_clamp 1
		.amdhsa_ieee_mode 1
		.amdhsa_fp16_overflow 0
		.amdhsa_exception_fp_ieee_invalid_op 0
		.amdhsa_exception_fp_denorm_src 0
		.amdhsa_exception_fp_ieee_div_zero 0
		.amdhsa_exception_fp_ieee_overflow 0
		.amdhsa_exception_fp_ieee_underflow 0
		.amdhsa_exception_fp_ieee_inexact 0
		.amdhsa_exception_int_div_zero 0
	.end_amdhsa_kernel
	.section	.text._Z15upperMaskKernelIiEviiiPKT_S0_PS0_,"axG",@progbits,_Z15upperMaskKernelIiEviiiPKT_S0_PS0_,comdat
.Lfunc_end2:
	.size	_Z15upperMaskKernelIiEviiiPKT_S0_PS0_, .Lfunc_end2-_Z15upperMaskKernelIiEviiiPKT_S0_PS0_
                                        ; -- End function
	.set _Z15upperMaskKernelIiEviiiPKT_S0_PS0_.num_vgpr, 13
	.set _Z15upperMaskKernelIiEviiiPKT_S0_PS0_.num_agpr, 0
	.set _Z15upperMaskKernelIiEviiiPKT_S0_PS0_.numbered_sgpr, 22
	.set _Z15upperMaskKernelIiEviiiPKT_S0_PS0_.num_named_barrier, 0
	.set _Z15upperMaskKernelIiEviiiPKT_S0_PS0_.private_seg_size, 0
	.set _Z15upperMaskKernelIiEviiiPKT_S0_PS0_.uses_vcc, 1
	.set _Z15upperMaskKernelIiEviiiPKT_S0_PS0_.uses_flat_scratch, 0
	.set _Z15upperMaskKernelIiEviiiPKT_S0_PS0_.has_dyn_sized_stack, 0
	.set _Z15upperMaskKernelIiEviiiPKT_S0_PS0_.has_recursion, 0
	.set _Z15upperMaskKernelIiEviiiPKT_S0_PS0_.has_indirect_call, 0
	.section	.AMDGPU.csdata,"",@progbits
; Kernel info:
; codeLenInByte = 912
; TotalNumSgprs: 26
; NumVgprs: 13
; ScratchSize: 0
; MemoryBound: 0
; FloatMode: 240
; IeeeMode: 1
; LDSByteSize: 0 bytes/workgroup (compile time only)
; SGPRBlocks: 3
; VGPRBlocks: 3
; NumSGPRsForWavesPerEU: 26
; NumVGPRsForWavesPerEU: 13
; Occupancy: 10
; WaveLimiterHint : 0
; COMPUTE_PGM_RSRC2:SCRATCH_EN: 0
; COMPUTE_PGM_RSRC2:USER_SGPR: 6
; COMPUTE_PGM_RSRC2:TRAP_HANDLER: 0
; COMPUTE_PGM_RSRC2:TGID_X_EN: 1
; COMPUTE_PGM_RSRC2:TGID_Y_EN: 0
; COMPUTE_PGM_RSRC2:TGID_Z_EN: 0
; COMPUTE_PGM_RSRC2:TIDIG_COMP_CNT: 0
	.section	.text._Z15lowerMaskKernelIiEviiiPKT_S0_PS0_,"axG",@progbits,_Z15lowerMaskKernelIiEviiiPKT_S0_PS0_,comdat
	.protected	_Z15lowerMaskKernelIiEviiiPKT_S0_PS0_ ; -- Begin function _Z15lowerMaskKernelIiEviiiPKT_S0_PS0_
	.globl	_Z15lowerMaskKernelIiEviiiPKT_S0_PS0_
	.p2align	8
	.type	_Z15lowerMaskKernelIiEviiiPKT_S0_PS0_,@function
_Z15lowerMaskKernelIiEviiiPKT_S0_PS0_:  ; @_Z15lowerMaskKernelIiEviiiPKT_S0_PS0_
; %bb.0:
	s_load_dword s16, s[4:5], 0x18
	s_load_dwordx2 s[8:9], s[4:5], 0x20
	s_load_dword s7, s[4:5], 0x34
	s_load_dwordx4 s[0:3], s[4:5], 0x0
	s_load_dwordx2 s[10:11], s[4:5], 0x10
	s_add_u32 s4, s4, 40
	s_addc_u32 s5, s5, 0
	s_waitcnt lgkmcnt(0)
	s_and_b32 s3, s7, 0xffff
	s_mul_i32 s6, s6, s3
	s_cmp_lt_i32 s2, 0
	v_add_u32_e32 v0, s6, v0
	s_mul_i32 s17, s1, s0
	s_mov_b64 s[6:7], -1
	s_cbranch_scc0 .LBB3_7
; %bb.1:
	v_cmp_gt_i32_e32 vcc, s17, v0
	s_and_saveexec_b64 s[6:7], vcc
	s_cbranch_execz .LBB3_6
; %bb.2:
	s_abs_i32 s18, s1
	v_cvt_f32_u32_e32 v1, s18
	s_sub_i32 s12, 0, s18
	s_load_dword s21, s[4:5], 0x0
	s_ashr_i32 s19, s1, 31
	v_rcp_iflag_f32_e32 v1, v1
	s_sub_i32 s20, 0, s1
	v_mov_b32_e32 v4, s9
	s_waitcnt lgkmcnt(0)
	s_mul_i32 s21, s21, s3
	v_mul_f32_e32 v1, 0x4f7ffffe, v1
	v_cvt_u32_f32_e32 v1, v1
	v_mul_lo_u32 v2, s12, v1
	s_mov_b64 s[12:13], 0
	v_mul_hi_u32 v2, v1, v2
	v_add_u32_e32 v5, v1, v2
	v_mov_b32_e32 v1, v0
	s_branch .LBB3_4
.LBB3_3:                                ;   in Loop: Header=BB3_4 Depth=1
	s_or_b64 exec, exec, s[14:15]
	v_add_co_u32_e32 v2, vcc, s8, v2
	v_addc_co_u32_e32 v3, vcc, v4, v3, vcc
	v_add_u32_e32 v1, s21, v1
	v_cmp_le_i32_e32 vcc, s17, v1
	s_or_b64 s[12:13], vcc, s[12:13]
	s_waitcnt vmcnt(0)
	global_store_dword v[2:3], v6, off
	s_andn2_b64 exec, exec, s[12:13]
	s_cbranch_execz .LBB3_6
.LBB3_4:                                ; =>This Inner Loop Header: Depth=1
	v_sub_u32_e32 v2, 0, v1
	v_max_i32_e32 v3, v1, v2
	v_mul_hi_u32 v6, v3, v5
	v_ashrrev_i32_e32 v2, 31, v1
	v_xor_b32_e32 v8, s19, v2
	v_mul_lo_u32 v7, v6, s18
	v_add_u32_e32 v9, 1, v6
	v_sub_u32_e32 v3, v3, v7
	v_cmp_le_u32_e32 vcc, s18, v3
	v_subrev_u32_e32 v7, s18, v3
	v_cndmask_b32_e32 v6, v6, v9, vcc
	v_cndmask_b32_e32 v3, v3, v7, vcc
	v_add_u32_e32 v7, 1, v6
	v_cmp_le_u32_e32 vcc, s18, v3
	v_cndmask_b32_e32 v3, v6, v7, vcc
	v_xor_b32_e32 v3, v3, v8
	v_sub_u32_e32 v8, v3, v8
	v_mad_u64_u32 v[6:7], s[14:15], s20, v8, v[1:2]
	v_lshlrev_b64 v[2:3], 2, v[1:2]
	v_cmp_ge_i32_e32 vcc, v6, v8
	v_mov_b32_e32 v6, s16
	s_and_saveexec_b64 s[14:15], vcc
	s_cbranch_execz .LBB3_3
; %bb.5:                                ;   in Loop: Header=BB3_4 Depth=1
	v_mov_b32_e32 v7, s11
	v_add_co_u32_e32 v6, vcc, s10, v2
	v_addc_co_u32_e32 v7, vcc, v7, v3, vcc
	global_load_dword v6, v[6:7], off
	s_branch .LBB3_3
.LBB3_6:
	s_or_b64 exec, exec, s[6:7]
	s_mov_b64 s[6:7], 0
.LBB3_7:
	s_andn2_b64 vcc, exec, s[6:7]
	s_cbranch_vccnz .LBB3_13
; %bb.8:
	s_mul_i32 s6, s17, s2
	v_cmp_gt_i32_e32 vcc, s6, v0
	s_and_saveexec_b64 s[12:13], vcc
	s_cbranch_execz .LBB3_13
; %bb.9:
	s_abs_i32 s7, s1
	v_cvt_f32_u32_e32 v1, s7
	s_abs_i32 s0, s0
	v_cvt_f32_u32_e32 v2, s0
	;; [unrolled: 2-line block ×3, first 2 shown]
	v_rcp_iflag_f32_e32 v1, v1
	v_rcp_iflag_f32_e32 v2, v2
	s_sub_i32 s2, 0, s7
	v_rcp_iflag_f32_e32 v3, v3
	v_mul_f32_e32 v1, 0x4f7ffffe, v1
	v_cvt_u32_f32_e32 v1, v1
	v_mul_f32_e32 v2, 0x4f7ffffe, v2
	v_cvt_u32_f32_e32 v2, v2
	v_mul_f32_e32 v3, 0x4f7ffffe, v3
	v_cvt_u32_f32_e32 v5, v3
	v_mul_lo_u32 v4, s2, v1
	s_sub_i32 s2, 0, s0
	v_mul_lo_u32 v3, s2, v2
	s_sub_i32 s2, 0, s12
	v_mul_lo_u32 v6, s2, v5
	s_load_dword s13, s[4:5], 0x0
	v_mul_hi_u32 v4, v1, v4
	v_mul_hi_u32 v7, v2, v3
	;; [unrolled: 1-line block ×3, first 2 shown]
	s_ashr_i32 s14, s1, 31
	s_waitcnt lgkmcnt(0)
	s_mul_i32 s13, s13, s3
	v_add_u32_e32 v3, v1, v4
	v_add_u32_e32 v4, v2, v7
	v_add_u32_e32 v5, v5, v6
	s_sub_i32 s15, 0, s1
	s_mov_b64 s[2:3], 0
	v_mov_b32_e32 v6, s9
	s_branch .LBB3_11
.LBB3_10:                               ;   in Loop: Header=BB3_11 Depth=1
	s_or_b64 exec, exec, s[4:5]
	v_add_co_u32_e32 v1, vcc, s8, v1
	v_addc_co_u32_e32 v2, vcc, v6, v2, vcc
	v_add_u32_e32 v0, s13, v0
	v_cmp_le_i32_e32 vcc, s6, v0
	s_or_b64 s[2:3], vcc, s[2:3]
	s_waitcnt vmcnt(0)
	global_store_dword v[1:2], v7, off
	s_andn2_b64 exec, exec, s[2:3]
	s_cbranch_execz .LBB3_13
.LBB3_11:                               ; =>This Inner Loop Header: Depth=1
	v_sub_u32_e32 v1, 0, v0
	v_max_i32_e32 v1, v0, v1
	v_mul_hi_u32 v2, v1, v3
	v_ashrrev_i32_e32 v8, 31, v0
	v_xor_b32_e32 v8, s14, v8
	v_mul_lo_u32 v7, v2, s7
	v_add_u32_e32 v9, 1, v2
	v_sub_u32_e32 v1, v1, v7
	v_cmp_le_u32_e32 vcc, s7, v1
	v_subrev_u32_e32 v7, s7, v1
	v_cndmask_b32_e32 v2, v2, v9, vcc
	v_cndmask_b32_e32 v1, v1, v7, vcc
	v_add_u32_e32 v7, 1, v2
	v_cmp_le_u32_e32 vcc, s7, v1
	v_cndmask_b32_e32 v1, v2, v7, vcc
	v_xor_b32_e32 v1, v1, v8
	v_sub_u32_e32 v7, v1, v8
	v_sub_u32_e32 v2, 0, v7
	v_max_i32_e32 v2, v7, v2
	v_mul_hi_u32 v9, v2, v4
	v_ashrrev_i32_e32 v10, 31, v7
	v_mul_lo_u32 v9, v9, s0
	v_sub_u32_e32 v2, v2, v9
	v_subrev_u32_e32 v9, s0, v2
	v_cmp_le_u32_e32 vcc, s0, v2
	v_cndmask_b32_e32 v2, v2, v9, vcc
	v_subrev_u32_e32 v9, s0, v2
	v_cmp_le_u32_e32 vcc, s0, v2
	v_cndmask_b32_e32 v2, v2, v9, vcc
	v_xor_b32_e32 v9, v2, v10
	v_add_u32_e32 v2, v9, v8
	v_sub_u32_e32 v1, v2, v1
	v_sub_u32_e32 v1, v1, v10
	v_mad_u64_u32 v[1:2], s[4:5], s1, v1, v[0:1]
	v_sub_u32_e32 v8, v0, v1
	v_sub_u32_e32 v1, 0, v8
	v_max_i32_e32 v11, v8, v1
	v_mul_hi_u32 v1, v11, v5
	v_mul_lo_u32 v12, v1, s12
	v_mad_u64_u32 v[1:2], s[4:5], s15, v7, v[0:1]
	v_ashrrev_i32_e32 v7, 31, v8
	v_sub_u32_e32 v8, v11, v12
	v_sub_u32_e32 v2, v9, v10
	v_subrev_u32_e32 v9, s12, v8
	v_cmp_le_u32_e32 vcc, s12, v8
	v_cndmask_b32_e32 v8, v8, v9, vcc
	v_subrev_u32_e32 v9, s12, v8
	v_cmp_le_u32_e32 vcc, s12, v8
	v_cndmask_b32_e32 v8, v8, v9, vcc
	v_xor_b32_e32 v8, v8, v7
	v_sub_u32_e32 v7, v7, v8
	v_add_u32_e32 v7, v0, v7
	v_ashrrev_i32_e32 v8, 31, v7
	v_cmp_ge_i32_e32 vcc, v1, v2
	v_lshlrev_b64 v[1:2], 2, v[7:8]
	v_mov_b32_e32 v7, s16
	s_and_saveexec_b64 s[4:5], vcc
	s_cbranch_execz .LBB3_10
; %bb.12:                               ;   in Loop: Header=BB3_11 Depth=1
	v_mov_b32_e32 v8, s11
	v_add_co_u32_e32 v7, vcc, s10, v1
	v_addc_co_u32_e32 v8, vcc, v8, v2, vcc
	global_load_dword v7, v[7:8], off
	s_branch .LBB3_10
.LBB3_13:
	s_endpgm
	.section	.rodata,"a",@progbits
	.p2align	6, 0x0
	.amdhsa_kernel _Z15lowerMaskKernelIiEviiiPKT_S0_PS0_
		.amdhsa_group_segment_fixed_size 0
		.amdhsa_private_segment_fixed_size 0
		.amdhsa_kernarg_size 296
		.amdhsa_user_sgpr_count 6
		.amdhsa_user_sgpr_private_segment_buffer 1
		.amdhsa_user_sgpr_dispatch_ptr 0
		.amdhsa_user_sgpr_queue_ptr 0
		.amdhsa_user_sgpr_kernarg_segment_ptr 1
		.amdhsa_user_sgpr_dispatch_id 0
		.amdhsa_user_sgpr_flat_scratch_init 0
		.amdhsa_user_sgpr_private_segment_size 0
		.amdhsa_uses_dynamic_stack 0
		.amdhsa_system_sgpr_private_segment_wavefront_offset 0
		.amdhsa_system_sgpr_workgroup_id_x 1
		.amdhsa_system_sgpr_workgroup_id_y 0
		.amdhsa_system_sgpr_workgroup_id_z 0
		.amdhsa_system_sgpr_workgroup_info 0
		.amdhsa_system_vgpr_workitem_id 0
		.amdhsa_next_free_vgpr 13
		.amdhsa_next_free_sgpr 22
		.amdhsa_reserve_vcc 1
		.amdhsa_reserve_flat_scratch 0
		.amdhsa_float_round_mode_32 0
		.amdhsa_float_round_mode_16_64 0
		.amdhsa_float_denorm_mode_32 3
		.amdhsa_float_denorm_mode_16_64 3
		.amdhsa_dx10_clamp 1
		.amdhsa_ieee_mode 1
		.amdhsa_fp16_overflow 0
		.amdhsa_exception_fp_ieee_invalid_op 0
		.amdhsa_exception_fp_denorm_src 0
		.amdhsa_exception_fp_ieee_div_zero 0
		.amdhsa_exception_fp_ieee_overflow 0
		.amdhsa_exception_fp_ieee_underflow 0
		.amdhsa_exception_fp_ieee_inexact 0
		.amdhsa_exception_int_div_zero 0
	.end_amdhsa_kernel
	.section	.text._Z15lowerMaskKernelIiEviiiPKT_S0_PS0_,"axG",@progbits,_Z15lowerMaskKernelIiEviiiPKT_S0_PS0_,comdat
.Lfunc_end3:
	.size	_Z15lowerMaskKernelIiEviiiPKT_S0_PS0_, .Lfunc_end3-_Z15lowerMaskKernelIiEviiiPKT_S0_PS0_
                                        ; -- End function
	.set _Z15lowerMaskKernelIiEviiiPKT_S0_PS0_.num_vgpr, 13
	.set _Z15lowerMaskKernelIiEviiiPKT_S0_PS0_.num_agpr, 0
	.set _Z15lowerMaskKernelIiEviiiPKT_S0_PS0_.numbered_sgpr, 22
	.set _Z15lowerMaskKernelIiEviiiPKT_S0_PS0_.num_named_barrier, 0
	.set _Z15lowerMaskKernelIiEviiiPKT_S0_PS0_.private_seg_size, 0
	.set _Z15lowerMaskKernelIiEviiiPKT_S0_PS0_.uses_vcc, 1
	.set _Z15lowerMaskKernelIiEviiiPKT_S0_PS0_.uses_flat_scratch, 0
	.set _Z15lowerMaskKernelIiEviiiPKT_S0_PS0_.has_dyn_sized_stack, 0
	.set _Z15lowerMaskKernelIiEviiiPKT_S0_PS0_.has_recursion, 0
	.set _Z15lowerMaskKernelIiEviiiPKT_S0_PS0_.has_indirect_call, 0
	.section	.AMDGPU.csdata,"",@progbits
; Kernel info:
; codeLenInByte = 912
; TotalNumSgprs: 26
; NumVgprs: 13
; ScratchSize: 0
; MemoryBound: 0
; FloatMode: 240
; IeeeMode: 1
; LDSByteSize: 0 bytes/workgroup (compile time only)
; SGPRBlocks: 3
; VGPRBlocks: 3
; NumSGPRsForWavesPerEU: 26
; NumVGPRsForWavesPerEU: 13
; Occupancy: 10
; WaveLimiterHint : 0
; COMPUTE_PGM_RSRC2:SCRATCH_EN: 0
; COMPUTE_PGM_RSRC2:USER_SGPR: 6
; COMPUTE_PGM_RSRC2:TRAP_HANDLER: 0
; COMPUTE_PGM_RSRC2:TGID_X_EN: 1
; COMPUTE_PGM_RSRC2:TGID_Y_EN: 0
; COMPUTE_PGM_RSRC2:TGID_Z_EN: 0
; COMPUTE_PGM_RSRC2:TIDIG_COMP_CNT: 0
	.section	.text._Z19upperDiagMaskKernelIiEviiiPKT_S0_PS0_,"axG",@progbits,_Z19upperDiagMaskKernelIiEviiiPKT_S0_PS0_,comdat
	.protected	_Z19upperDiagMaskKernelIiEviiiPKT_S0_PS0_ ; -- Begin function _Z19upperDiagMaskKernelIiEviiiPKT_S0_PS0_
	.globl	_Z19upperDiagMaskKernelIiEviiiPKT_S0_PS0_
	.p2align	8
	.type	_Z19upperDiagMaskKernelIiEviiiPKT_S0_PS0_,@function
_Z19upperDiagMaskKernelIiEviiiPKT_S0_PS0_: ; @_Z19upperDiagMaskKernelIiEviiiPKT_S0_PS0_
; %bb.0:
	s_load_dword s16, s[4:5], 0x18
	s_load_dwordx2 s[8:9], s[4:5], 0x20
	s_load_dword s7, s[4:5], 0x34
	s_load_dwordx4 s[0:3], s[4:5], 0x0
	s_load_dwordx2 s[10:11], s[4:5], 0x10
	s_add_u32 s4, s4, 40
	s_addc_u32 s5, s5, 0
	s_waitcnt lgkmcnt(0)
	s_and_b32 s3, s7, 0xffff
	s_mul_i32 s6, s6, s3
	s_cmp_lt_i32 s2, 0
	v_add_u32_e32 v0, s6, v0
	s_mul_i32 s17, s1, s0
	s_mov_b64 s[6:7], -1
	s_cbranch_scc0 .LBB4_7
; %bb.1:
	v_cmp_gt_i32_e32 vcc, s17, v0
	s_and_saveexec_b64 s[6:7], vcc
	s_cbranch_execz .LBB4_6
; %bb.2:
	s_abs_i32 s18, s1
	v_cvt_f32_u32_e32 v1, s18
	s_sub_i32 s12, 0, s18
	s_load_dword s21, s[4:5], 0x0
	s_ashr_i32 s19, s1, 31
	v_rcp_iflag_f32_e32 v1, v1
	s_sub_i32 s20, 0, s1
	v_mov_b32_e32 v4, s9
	s_waitcnt lgkmcnt(0)
	s_mul_i32 s21, s21, s3
	v_mul_f32_e32 v1, 0x4f7ffffe, v1
	v_cvt_u32_f32_e32 v1, v1
	v_mul_lo_u32 v2, s12, v1
	s_mov_b64 s[12:13], 0
	v_mul_hi_u32 v2, v1, v2
	v_add_u32_e32 v5, v1, v2
	v_mov_b32_e32 v1, v0
	s_branch .LBB4_4
.LBB4_3:                                ;   in Loop: Header=BB4_4 Depth=1
	s_or_b64 exec, exec, s[14:15]
	v_add_co_u32_e32 v2, vcc, s8, v2
	v_addc_co_u32_e32 v3, vcc, v4, v3, vcc
	v_add_u32_e32 v1, s21, v1
	v_cmp_le_i32_e32 vcc, s17, v1
	s_or_b64 s[12:13], vcc, s[12:13]
	s_waitcnt vmcnt(0)
	global_store_dword v[2:3], v6, off
	s_andn2_b64 exec, exec, s[12:13]
	s_cbranch_execz .LBB4_6
.LBB4_4:                                ; =>This Inner Loop Header: Depth=1
	v_sub_u32_e32 v2, 0, v1
	v_max_i32_e32 v3, v1, v2
	v_mul_hi_u32 v6, v3, v5
	v_ashrrev_i32_e32 v2, 31, v1
	v_xor_b32_e32 v8, s19, v2
	v_mul_lo_u32 v7, v6, s18
	v_add_u32_e32 v9, 1, v6
	v_sub_u32_e32 v3, v3, v7
	v_cmp_le_u32_e32 vcc, s18, v3
	v_subrev_u32_e32 v7, s18, v3
	v_cndmask_b32_e32 v6, v6, v9, vcc
	v_cndmask_b32_e32 v3, v3, v7, vcc
	v_add_u32_e32 v7, 1, v6
	v_cmp_le_u32_e32 vcc, s18, v3
	v_cndmask_b32_e32 v3, v6, v7, vcc
	v_xor_b32_e32 v3, v3, v8
	v_sub_u32_e32 v8, v3, v8
	v_mad_u64_u32 v[6:7], s[14:15], s20, v8, v[1:2]
	v_lshlrev_b64 v[2:3], 2, v[1:2]
	v_cmp_lt_i32_e32 vcc, v6, v8
	v_mov_b32_e32 v6, s16
	s_and_saveexec_b64 s[14:15], vcc
	s_cbranch_execz .LBB4_3
; %bb.5:                                ;   in Loop: Header=BB4_4 Depth=1
	v_mov_b32_e32 v7, s11
	v_add_co_u32_e32 v6, vcc, s10, v2
	v_addc_co_u32_e32 v7, vcc, v7, v3, vcc
	global_load_dword v6, v[6:7], off
	s_branch .LBB4_3
.LBB4_6:
	s_or_b64 exec, exec, s[6:7]
	s_mov_b64 s[6:7], 0
.LBB4_7:
	s_andn2_b64 vcc, exec, s[6:7]
	s_cbranch_vccnz .LBB4_13
; %bb.8:
	s_mul_i32 s6, s17, s2
	v_cmp_gt_i32_e32 vcc, s6, v0
	s_and_saveexec_b64 s[12:13], vcc
	s_cbranch_execz .LBB4_13
; %bb.9:
	s_abs_i32 s7, s1
	v_cvt_f32_u32_e32 v1, s7
	s_abs_i32 s0, s0
	v_cvt_f32_u32_e32 v2, s0
	s_abs_i32 s12, s17
	v_cvt_f32_u32_e32 v3, s12
	v_rcp_iflag_f32_e32 v1, v1
	v_rcp_iflag_f32_e32 v2, v2
	s_sub_i32 s2, 0, s7
	v_rcp_iflag_f32_e32 v3, v3
	v_mul_f32_e32 v1, 0x4f7ffffe, v1
	v_cvt_u32_f32_e32 v1, v1
	v_mul_f32_e32 v2, 0x4f7ffffe, v2
	v_cvt_u32_f32_e32 v2, v2
	;; [unrolled: 2-line block ×3, first 2 shown]
	v_mul_lo_u32 v4, s2, v1
	s_sub_i32 s2, 0, s0
	v_mul_lo_u32 v3, s2, v2
	s_sub_i32 s2, 0, s12
	v_mul_lo_u32 v6, s2, v5
	s_load_dword s13, s[4:5], 0x0
	v_mul_hi_u32 v4, v1, v4
	v_mul_hi_u32 v7, v2, v3
	v_mul_hi_u32 v6, v5, v6
	s_ashr_i32 s14, s1, 31
	s_waitcnt lgkmcnt(0)
	s_mul_i32 s13, s13, s3
	v_add_u32_e32 v3, v1, v4
	v_add_u32_e32 v4, v2, v7
	;; [unrolled: 1-line block ×3, first 2 shown]
	s_sub_i32 s15, 0, s1
	s_mov_b64 s[2:3], 0
	v_mov_b32_e32 v6, s9
	s_branch .LBB4_11
.LBB4_10:                               ;   in Loop: Header=BB4_11 Depth=1
	s_or_b64 exec, exec, s[4:5]
	v_add_co_u32_e32 v1, vcc, s8, v1
	v_addc_co_u32_e32 v2, vcc, v6, v2, vcc
	v_add_u32_e32 v0, s13, v0
	v_cmp_le_i32_e32 vcc, s6, v0
	s_or_b64 s[2:3], vcc, s[2:3]
	s_waitcnt vmcnt(0)
	global_store_dword v[1:2], v7, off
	s_andn2_b64 exec, exec, s[2:3]
	s_cbranch_execz .LBB4_13
.LBB4_11:                               ; =>This Inner Loop Header: Depth=1
	v_sub_u32_e32 v1, 0, v0
	v_max_i32_e32 v1, v0, v1
	v_mul_hi_u32 v2, v1, v3
	v_ashrrev_i32_e32 v8, 31, v0
	v_xor_b32_e32 v8, s14, v8
	v_mul_lo_u32 v7, v2, s7
	v_add_u32_e32 v9, 1, v2
	v_sub_u32_e32 v1, v1, v7
	v_cmp_le_u32_e32 vcc, s7, v1
	v_subrev_u32_e32 v7, s7, v1
	v_cndmask_b32_e32 v2, v2, v9, vcc
	v_cndmask_b32_e32 v1, v1, v7, vcc
	v_add_u32_e32 v7, 1, v2
	v_cmp_le_u32_e32 vcc, s7, v1
	v_cndmask_b32_e32 v1, v2, v7, vcc
	v_xor_b32_e32 v1, v1, v8
	v_sub_u32_e32 v7, v1, v8
	v_sub_u32_e32 v2, 0, v7
	v_max_i32_e32 v2, v7, v2
	v_mul_hi_u32 v9, v2, v4
	v_ashrrev_i32_e32 v10, 31, v7
	v_mul_lo_u32 v9, v9, s0
	v_sub_u32_e32 v2, v2, v9
	v_subrev_u32_e32 v9, s0, v2
	v_cmp_le_u32_e32 vcc, s0, v2
	v_cndmask_b32_e32 v2, v2, v9, vcc
	v_subrev_u32_e32 v9, s0, v2
	v_cmp_le_u32_e32 vcc, s0, v2
	v_cndmask_b32_e32 v2, v2, v9, vcc
	v_xor_b32_e32 v9, v2, v10
	v_add_u32_e32 v2, v9, v8
	v_sub_u32_e32 v1, v2, v1
	v_sub_u32_e32 v1, v1, v10
	v_mad_u64_u32 v[1:2], s[4:5], s1, v1, v[0:1]
	v_sub_u32_e32 v8, v0, v1
	v_sub_u32_e32 v1, 0, v8
	v_max_i32_e32 v11, v8, v1
	v_mul_hi_u32 v1, v11, v5
	v_mul_lo_u32 v12, v1, s12
	v_mad_u64_u32 v[1:2], s[4:5], s15, v7, v[0:1]
	v_ashrrev_i32_e32 v7, 31, v8
	v_sub_u32_e32 v8, v11, v12
	v_sub_u32_e32 v2, v9, v10
	v_subrev_u32_e32 v9, s12, v8
	v_cmp_le_u32_e32 vcc, s12, v8
	v_cndmask_b32_e32 v8, v8, v9, vcc
	v_subrev_u32_e32 v9, s12, v8
	v_cmp_le_u32_e32 vcc, s12, v8
	v_cndmask_b32_e32 v8, v8, v9, vcc
	v_xor_b32_e32 v8, v8, v7
	v_sub_u32_e32 v7, v7, v8
	v_add_u32_e32 v7, v0, v7
	v_ashrrev_i32_e32 v8, 31, v7
	v_cmp_lt_i32_e32 vcc, v1, v2
	v_lshlrev_b64 v[1:2], 2, v[7:8]
	v_mov_b32_e32 v7, s16
	s_and_saveexec_b64 s[4:5], vcc
	s_cbranch_execz .LBB4_10
; %bb.12:                               ;   in Loop: Header=BB4_11 Depth=1
	v_mov_b32_e32 v8, s11
	v_add_co_u32_e32 v7, vcc, s10, v1
	v_addc_co_u32_e32 v8, vcc, v8, v2, vcc
	global_load_dword v7, v[7:8], off
	s_branch .LBB4_10
.LBB4_13:
	s_endpgm
	.section	.rodata,"a",@progbits
	.p2align	6, 0x0
	.amdhsa_kernel _Z19upperDiagMaskKernelIiEviiiPKT_S0_PS0_
		.amdhsa_group_segment_fixed_size 0
		.amdhsa_private_segment_fixed_size 0
		.amdhsa_kernarg_size 296
		.amdhsa_user_sgpr_count 6
		.amdhsa_user_sgpr_private_segment_buffer 1
		.amdhsa_user_sgpr_dispatch_ptr 0
		.amdhsa_user_sgpr_queue_ptr 0
		.amdhsa_user_sgpr_kernarg_segment_ptr 1
		.amdhsa_user_sgpr_dispatch_id 0
		.amdhsa_user_sgpr_flat_scratch_init 0
		.amdhsa_user_sgpr_private_segment_size 0
		.amdhsa_uses_dynamic_stack 0
		.amdhsa_system_sgpr_private_segment_wavefront_offset 0
		.amdhsa_system_sgpr_workgroup_id_x 1
		.amdhsa_system_sgpr_workgroup_id_y 0
		.amdhsa_system_sgpr_workgroup_id_z 0
		.amdhsa_system_sgpr_workgroup_info 0
		.amdhsa_system_vgpr_workitem_id 0
		.amdhsa_next_free_vgpr 13
		.amdhsa_next_free_sgpr 22
		.amdhsa_reserve_vcc 1
		.amdhsa_reserve_flat_scratch 0
		.amdhsa_float_round_mode_32 0
		.amdhsa_float_round_mode_16_64 0
		.amdhsa_float_denorm_mode_32 3
		.amdhsa_float_denorm_mode_16_64 3
		.amdhsa_dx10_clamp 1
		.amdhsa_ieee_mode 1
		.amdhsa_fp16_overflow 0
		.amdhsa_exception_fp_ieee_invalid_op 0
		.amdhsa_exception_fp_denorm_src 0
		.amdhsa_exception_fp_ieee_div_zero 0
		.amdhsa_exception_fp_ieee_overflow 0
		.amdhsa_exception_fp_ieee_underflow 0
		.amdhsa_exception_fp_ieee_inexact 0
		.amdhsa_exception_int_div_zero 0
	.end_amdhsa_kernel
	.section	.text._Z19upperDiagMaskKernelIiEviiiPKT_S0_PS0_,"axG",@progbits,_Z19upperDiagMaskKernelIiEviiiPKT_S0_PS0_,comdat
.Lfunc_end4:
	.size	_Z19upperDiagMaskKernelIiEviiiPKT_S0_PS0_, .Lfunc_end4-_Z19upperDiagMaskKernelIiEviiiPKT_S0_PS0_
                                        ; -- End function
	.set _Z19upperDiagMaskKernelIiEviiiPKT_S0_PS0_.num_vgpr, 13
	.set _Z19upperDiagMaskKernelIiEviiiPKT_S0_PS0_.num_agpr, 0
	.set _Z19upperDiagMaskKernelIiEviiiPKT_S0_PS0_.numbered_sgpr, 22
	.set _Z19upperDiagMaskKernelIiEviiiPKT_S0_PS0_.num_named_barrier, 0
	.set _Z19upperDiagMaskKernelIiEviiiPKT_S0_PS0_.private_seg_size, 0
	.set _Z19upperDiagMaskKernelIiEviiiPKT_S0_PS0_.uses_vcc, 1
	.set _Z19upperDiagMaskKernelIiEviiiPKT_S0_PS0_.uses_flat_scratch, 0
	.set _Z19upperDiagMaskKernelIiEviiiPKT_S0_PS0_.has_dyn_sized_stack, 0
	.set _Z19upperDiagMaskKernelIiEviiiPKT_S0_PS0_.has_recursion, 0
	.set _Z19upperDiagMaskKernelIiEviiiPKT_S0_PS0_.has_indirect_call, 0
	.section	.AMDGPU.csdata,"",@progbits
; Kernel info:
; codeLenInByte = 912
; TotalNumSgprs: 26
; NumVgprs: 13
; ScratchSize: 0
; MemoryBound: 0
; FloatMode: 240
; IeeeMode: 1
; LDSByteSize: 0 bytes/workgroup (compile time only)
; SGPRBlocks: 3
; VGPRBlocks: 3
; NumSGPRsForWavesPerEU: 26
; NumVGPRsForWavesPerEU: 13
; Occupancy: 10
; WaveLimiterHint : 0
; COMPUTE_PGM_RSRC2:SCRATCH_EN: 0
; COMPUTE_PGM_RSRC2:USER_SGPR: 6
; COMPUTE_PGM_RSRC2:TRAP_HANDLER: 0
; COMPUTE_PGM_RSRC2:TGID_X_EN: 1
; COMPUTE_PGM_RSRC2:TGID_Y_EN: 0
; COMPUTE_PGM_RSRC2:TGID_Z_EN: 0
; COMPUTE_PGM_RSRC2:TIDIG_COMP_CNT: 0
	.section	.text._Z19lowerDiagMaskKernelIiEviiiPKT_S0_PS0_,"axG",@progbits,_Z19lowerDiagMaskKernelIiEviiiPKT_S0_PS0_,comdat
	.protected	_Z19lowerDiagMaskKernelIiEviiiPKT_S0_PS0_ ; -- Begin function _Z19lowerDiagMaskKernelIiEviiiPKT_S0_PS0_
	.globl	_Z19lowerDiagMaskKernelIiEviiiPKT_S0_PS0_
	.p2align	8
	.type	_Z19lowerDiagMaskKernelIiEviiiPKT_S0_PS0_,@function
_Z19lowerDiagMaskKernelIiEviiiPKT_S0_PS0_: ; @_Z19lowerDiagMaskKernelIiEviiiPKT_S0_PS0_
; %bb.0:
	s_load_dword s16, s[4:5], 0x18
	s_load_dwordx2 s[8:9], s[4:5], 0x20
	s_load_dword s7, s[4:5], 0x34
	s_load_dwordx4 s[0:3], s[4:5], 0x0
	s_load_dwordx2 s[10:11], s[4:5], 0x10
	s_add_u32 s4, s4, 40
	s_addc_u32 s5, s5, 0
	s_waitcnt lgkmcnt(0)
	s_and_b32 s3, s7, 0xffff
	s_mul_i32 s6, s6, s3
	s_cmp_lt_i32 s2, 0
	v_add_u32_e32 v0, s6, v0
	s_mul_i32 s17, s1, s0
	s_mov_b64 s[6:7], -1
	s_cbranch_scc0 .LBB5_7
; %bb.1:
	v_cmp_gt_i32_e32 vcc, s17, v0
	s_and_saveexec_b64 s[6:7], vcc
	s_cbranch_execz .LBB5_6
; %bb.2:
	s_abs_i32 s18, s1
	v_cvt_f32_u32_e32 v1, s18
	s_sub_i32 s12, 0, s18
	s_load_dword s21, s[4:5], 0x0
	s_ashr_i32 s19, s1, 31
	v_rcp_iflag_f32_e32 v1, v1
	s_sub_i32 s20, 0, s1
	v_mov_b32_e32 v4, s9
	s_waitcnt lgkmcnt(0)
	s_mul_i32 s21, s21, s3
	v_mul_f32_e32 v1, 0x4f7ffffe, v1
	v_cvt_u32_f32_e32 v1, v1
	v_mul_lo_u32 v2, s12, v1
	s_mov_b64 s[12:13], 0
	v_mul_hi_u32 v2, v1, v2
	v_add_u32_e32 v5, v1, v2
	v_mov_b32_e32 v1, v0
	s_branch .LBB5_4
.LBB5_3:                                ;   in Loop: Header=BB5_4 Depth=1
	s_or_b64 exec, exec, s[14:15]
	v_add_co_u32_e32 v2, vcc, s8, v2
	v_addc_co_u32_e32 v3, vcc, v4, v3, vcc
	v_add_u32_e32 v1, s21, v1
	v_cmp_le_i32_e32 vcc, s17, v1
	s_or_b64 s[12:13], vcc, s[12:13]
	s_waitcnt vmcnt(0)
	global_store_dword v[2:3], v6, off
	s_andn2_b64 exec, exec, s[12:13]
	s_cbranch_execz .LBB5_6
.LBB5_4:                                ; =>This Inner Loop Header: Depth=1
	v_sub_u32_e32 v2, 0, v1
	v_max_i32_e32 v3, v1, v2
	v_mul_hi_u32 v6, v3, v5
	v_ashrrev_i32_e32 v2, 31, v1
	v_xor_b32_e32 v8, s19, v2
	v_mul_lo_u32 v7, v6, s18
	v_add_u32_e32 v9, 1, v6
	v_sub_u32_e32 v3, v3, v7
	v_cmp_le_u32_e32 vcc, s18, v3
	v_subrev_u32_e32 v7, s18, v3
	v_cndmask_b32_e32 v6, v6, v9, vcc
	v_cndmask_b32_e32 v3, v3, v7, vcc
	v_add_u32_e32 v7, 1, v6
	v_cmp_le_u32_e32 vcc, s18, v3
	v_cndmask_b32_e32 v3, v6, v7, vcc
	v_xor_b32_e32 v3, v3, v8
	v_sub_u32_e32 v8, v3, v8
	v_mad_u64_u32 v[6:7], s[14:15], s20, v8, v[1:2]
	v_lshlrev_b64 v[2:3], 2, v[1:2]
	v_cmp_gt_i32_e32 vcc, v6, v8
	v_mov_b32_e32 v6, s16
	s_and_saveexec_b64 s[14:15], vcc
	s_cbranch_execz .LBB5_3
; %bb.5:                                ;   in Loop: Header=BB5_4 Depth=1
	v_mov_b32_e32 v7, s11
	v_add_co_u32_e32 v6, vcc, s10, v2
	v_addc_co_u32_e32 v7, vcc, v7, v3, vcc
	global_load_dword v6, v[6:7], off
	s_branch .LBB5_3
.LBB5_6:
	s_or_b64 exec, exec, s[6:7]
	s_mov_b64 s[6:7], 0
.LBB5_7:
	s_andn2_b64 vcc, exec, s[6:7]
	s_cbranch_vccnz .LBB5_13
; %bb.8:
	s_mul_i32 s6, s17, s2
	v_cmp_gt_i32_e32 vcc, s6, v0
	s_and_saveexec_b64 s[12:13], vcc
	s_cbranch_execz .LBB5_13
; %bb.9:
	s_abs_i32 s7, s1
	v_cvt_f32_u32_e32 v1, s7
	s_abs_i32 s0, s0
	v_cvt_f32_u32_e32 v2, s0
	;; [unrolled: 2-line block ×3, first 2 shown]
	v_rcp_iflag_f32_e32 v1, v1
	v_rcp_iflag_f32_e32 v2, v2
	s_sub_i32 s2, 0, s7
	v_rcp_iflag_f32_e32 v3, v3
	v_mul_f32_e32 v1, 0x4f7ffffe, v1
	v_cvt_u32_f32_e32 v1, v1
	v_mul_f32_e32 v2, 0x4f7ffffe, v2
	v_cvt_u32_f32_e32 v2, v2
	;; [unrolled: 2-line block ×3, first 2 shown]
	v_mul_lo_u32 v4, s2, v1
	s_sub_i32 s2, 0, s0
	v_mul_lo_u32 v3, s2, v2
	s_sub_i32 s2, 0, s12
	v_mul_lo_u32 v6, s2, v5
	s_load_dword s13, s[4:5], 0x0
	v_mul_hi_u32 v4, v1, v4
	v_mul_hi_u32 v7, v2, v3
	;; [unrolled: 1-line block ×3, first 2 shown]
	s_ashr_i32 s14, s1, 31
	s_waitcnt lgkmcnt(0)
	s_mul_i32 s13, s13, s3
	v_add_u32_e32 v3, v1, v4
	v_add_u32_e32 v4, v2, v7
	;; [unrolled: 1-line block ×3, first 2 shown]
	s_sub_i32 s15, 0, s1
	s_mov_b64 s[2:3], 0
	v_mov_b32_e32 v6, s9
	s_branch .LBB5_11
.LBB5_10:                               ;   in Loop: Header=BB5_11 Depth=1
	s_or_b64 exec, exec, s[4:5]
	v_add_co_u32_e32 v1, vcc, s8, v1
	v_addc_co_u32_e32 v2, vcc, v6, v2, vcc
	v_add_u32_e32 v0, s13, v0
	v_cmp_le_i32_e32 vcc, s6, v0
	s_or_b64 s[2:3], vcc, s[2:3]
	s_waitcnt vmcnt(0)
	global_store_dword v[1:2], v7, off
	s_andn2_b64 exec, exec, s[2:3]
	s_cbranch_execz .LBB5_13
.LBB5_11:                               ; =>This Inner Loop Header: Depth=1
	v_sub_u32_e32 v1, 0, v0
	v_max_i32_e32 v1, v0, v1
	v_mul_hi_u32 v2, v1, v3
	v_ashrrev_i32_e32 v8, 31, v0
	v_xor_b32_e32 v8, s14, v8
	v_mul_lo_u32 v7, v2, s7
	v_add_u32_e32 v9, 1, v2
	v_sub_u32_e32 v1, v1, v7
	v_cmp_le_u32_e32 vcc, s7, v1
	v_subrev_u32_e32 v7, s7, v1
	v_cndmask_b32_e32 v2, v2, v9, vcc
	v_cndmask_b32_e32 v1, v1, v7, vcc
	v_add_u32_e32 v7, 1, v2
	v_cmp_le_u32_e32 vcc, s7, v1
	v_cndmask_b32_e32 v1, v2, v7, vcc
	v_xor_b32_e32 v1, v1, v8
	v_sub_u32_e32 v7, v1, v8
	v_sub_u32_e32 v2, 0, v7
	v_max_i32_e32 v2, v7, v2
	v_mul_hi_u32 v9, v2, v4
	v_ashrrev_i32_e32 v10, 31, v7
	v_mul_lo_u32 v9, v9, s0
	v_sub_u32_e32 v2, v2, v9
	v_subrev_u32_e32 v9, s0, v2
	v_cmp_le_u32_e32 vcc, s0, v2
	v_cndmask_b32_e32 v2, v2, v9, vcc
	v_subrev_u32_e32 v9, s0, v2
	v_cmp_le_u32_e32 vcc, s0, v2
	v_cndmask_b32_e32 v2, v2, v9, vcc
	v_xor_b32_e32 v9, v2, v10
	v_add_u32_e32 v2, v9, v8
	v_sub_u32_e32 v1, v2, v1
	v_sub_u32_e32 v1, v1, v10
	v_mad_u64_u32 v[1:2], s[4:5], s1, v1, v[0:1]
	v_sub_u32_e32 v8, v0, v1
	v_sub_u32_e32 v1, 0, v8
	v_max_i32_e32 v11, v8, v1
	v_mul_hi_u32 v1, v11, v5
	v_mul_lo_u32 v12, v1, s12
	v_mad_u64_u32 v[1:2], s[4:5], s15, v7, v[0:1]
	v_ashrrev_i32_e32 v7, 31, v8
	v_sub_u32_e32 v8, v11, v12
	v_sub_u32_e32 v2, v9, v10
	v_subrev_u32_e32 v9, s12, v8
	v_cmp_le_u32_e32 vcc, s12, v8
	v_cndmask_b32_e32 v8, v8, v9, vcc
	v_subrev_u32_e32 v9, s12, v8
	v_cmp_le_u32_e32 vcc, s12, v8
	v_cndmask_b32_e32 v8, v8, v9, vcc
	v_xor_b32_e32 v8, v8, v7
	v_sub_u32_e32 v7, v7, v8
	v_add_u32_e32 v7, v0, v7
	v_ashrrev_i32_e32 v8, 31, v7
	v_cmp_gt_i32_e32 vcc, v1, v2
	v_lshlrev_b64 v[1:2], 2, v[7:8]
	v_mov_b32_e32 v7, s16
	s_and_saveexec_b64 s[4:5], vcc
	s_cbranch_execz .LBB5_10
; %bb.12:                               ;   in Loop: Header=BB5_11 Depth=1
	v_mov_b32_e32 v8, s11
	v_add_co_u32_e32 v7, vcc, s10, v1
	v_addc_co_u32_e32 v8, vcc, v8, v2, vcc
	global_load_dword v7, v[7:8], off
	s_branch .LBB5_10
.LBB5_13:
	s_endpgm
	.section	.rodata,"a",@progbits
	.p2align	6, 0x0
	.amdhsa_kernel _Z19lowerDiagMaskKernelIiEviiiPKT_S0_PS0_
		.amdhsa_group_segment_fixed_size 0
		.amdhsa_private_segment_fixed_size 0
		.amdhsa_kernarg_size 296
		.amdhsa_user_sgpr_count 6
		.amdhsa_user_sgpr_private_segment_buffer 1
		.amdhsa_user_sgpr_dispatch_ptr 0
		.amdhsa_user_sgpr_queue_ptr 0
		.amdhsa_user_sgpr_kernarg_segment_ptr 1
		.amdhsa_user_sgpr_dispatch_id 0
		.amdhsa_user_sgpr_flat_scratch_init 0
		.amdhsa_user_sgpr_private_segment_size 0
		.amdhsa_uses_dynamic_stack 0
		.amdhsa_system_sgpr_private_segment_wavefront_offset 0
		.amdhsa_system_sgpr_workgroup_id_x 1
		.amdhsa_system_sgpr_workgroup_id_y 0
		.amdhsa_system_sgpr_workgroup_id_z 0
		.amdhsa_system_sgpr_workgroup_info 0
		.amdhsa_system_vgpr_workitem_id 0
		.amdhsa_next_free_vgpr 13
		.amdhsa_next_free_sgpr 22
		.amdhsa_reserve_vcc 1
		.amdhsa_reserve_flat_scratch 0
		.amdhsa_float_round_mode_32 0
		.amdhsa_float_round_mode_16_64 0
		.amdhsa_float_denorm_mode_32 3
		.amdhsa_float_denorm_mode_16_64 3
		.amdhsa_dx10_clamp 1
		.amdhsa_ieee_mode 1
		.amdhsa_fp16_overflow 0
		.amdhsa_exception_fp_ieee_invalid_op 0
		.amdhsa_exception_fp_denorm_src 0
		.amdhsa_exception_fp_ieee_div_zero 0
		.amdhsa_exception_fp_ieee_overflow 0
		.amdhsa_exception_fp_ieee_underflow 0
		.amdhsa_exception_fp_ieee_inexact 0
		.amdhsa_exception_int_div_zero 0
	.end_amdhsa_kernel
	.section	.text._Z19lowerDiagMaskKernelIiEviiiPKT_S0_PS0_,"axG",@progbits,_Z19lowerDiagMaskKernelIiEviiiPKT_S0_PS0_,comdat
.Lfunc_end5:
	.size	_Z19lowerDiagMaskKernelIiEviiiPKT_S0_PS0_, .Lfunc_end5-_Z19lowerDiagMaskKernelIiEviiiPKT_S0_PS0_
                                        ; -- End function
	.set _Z19lowerDiagMaskKernelIiEviiiPKT_S0_PS0_.num_vgpr, 13
	.set _Z19lowerDiagMaskKernelIiEviiiPKT_S0_PS0_.num_agpr, 0
	.set _Z19lowerDiagMaskKernelIiEviiiPKT_S0_PS0_.numbered_sgpr, 22
	.set _Z19lowerDiagMaskKernelIiEviiiPKT_S0_PS0_.num_named_barrier, 0
	.set _Z19lowerDiagMaskKernelIiEviiiPKT_S0_PS0_.private_seg_size, 0
	.set _Z19lowerDiagMaskKernelIiEviiiPKT_S0_PS0_.uses_vcc, 1
	.set _Z19lowerDiagMaskKernelIiEviiiPKT_S0_PS0_.uses_flat_scratch, 0
	.set _Z19lowerDiagMaskKernelIiEviiiPKT_S0_PS0_.has_dyn_sized_stack, 0
	.set _Z19lowerDiagMaskKernelIiEviiiPKT_S0_PS0_.has_recursion, 0
	.set _Z19lowerDiagMaskKernelIiEviiiPKT_S0_PS0_.has_indirect_call, 0
	.section	.AMDGPU.csdata,"",@progbits
; Kernel info:
; codeLenInByte = 912
; TotalNumSgprs: 26
; NumVgprs: 13
; ScratchSize: 0
; MemoryBound: 0
; FloatMode: 240
; IeeeMode: 1
; LDSByteSize: 0 bytes/workgroup (compile time only)
; SGPRBlocks: 3
; VGPRBlocks: 3
; NumSGPRsForWavesPerEU: 26
; NumVGPRsForWavesPerEU: 13
; Occupancy: 10
; WaveLimiterHint : 0
; COMPUTE_PGM_RSRC2:SCRATCH_EN: 0
; COMPUTE_PGM_RSRC2:USER_SGPR: 6
; COMPUTE_PGM_RSRC2:TRAP_HANDLER: 0
; COMPUTE_PGM_RSRC2:TGID_X_EN: 1
; COMPUTE_PGM_RSRC2:TGID_Y_EN: 0
; COMPUTE_PGM_RSRC2:TGID_Z_EN: 0
; COMPUTE_PGM_RSRC2:TIDIG_COMP_CNT: 0
	.section	.AMDGPU.gpr_maximums,"",@progbits
	.set amdgpu.max_num_vgpr, 0
	.set amdgpu.max_num_agpr, 0
	.set amdgpu.max_num_sgpr, 0
	.section	.AMDGPU.csdata,"",@progbits
	.type	__hip_cuid_bd84cdb339f5ddf2,@object ; @__hip_cuid_bd84cdb339f5ddf2
	.section	.bss,"aw",@nobits
	.globl	__hip_cuid_bd84cdb339f5ddf2
__hip_cuid_bd84cdb339f5ddf2:
	.byte	0                               ; 0x0
	.size	__hip_cuid_bd84cdb339f5ddf2, 1

	.ident	"AMD clang version 22.0.0git (https://github.com/RadeonOpenCompute/llvm-project roc-7.2.4 26084 f58b06dce1f9c15707c5f808fd002e18c2accf7e)"
	.section	".note.GNU-stack","",@progbits
	.addrsig
	.addrsig_sym __hip_cuid_bd84cdb339f5ddf2
	.amdgpu_metadata
---
amdhsa.kernels:
  - .args:
      - .offset:         0
        .size:           4
        .value_kind:     by_value
      - .offset:         4
        .size:           4
        .value_kind:     by_value
      - .offset:         8
        .size:           4
        .value_kind:     by_value
      - .address_space:  global
        .offset:         16
        .size:           8
        .value_kind:     global_buffer
      - .address_space:  global
        .offset:         24
        .size:           8
        .value_kind:     global_buffer
      - .offset:         32
        .size:           4
        .value_kind:     by_value
      - .address_space:  global
        .offset:         40
        .size:           8
        .value_kind:     global_buffer
      - .offset:         48
        .size:           4
        .value_kind:     hidden_block_count_x
      - .offset:         52
        .size:           4
        .value_kind:     hidden_block_count_y
      - .offset:         56
        .size:           4
        .value_kind:     hidden_block_count_z
      - .offset:         60
        .size:           2
        .value_kind:     hidden_group_size_x
      - .offset:         62
        .size:           2
        .value_kind:     hidden_group_size_y
      - .offset:         64
        .size:           2
        .value_kind:     hidden_group_size_z
      - .offset:         66
        .size:           2
        .value_kind:     hidden_remainder_x
      - .offset:         68
        .size:           2
        .value_kind:     hidden_remainder_y
      - .offset:         70
        .size:           2
        .value_kind:     hidden_remainder_z
      - .offset:         88
        .size:           8
        .value_kind:     hidden_global_offset_x
      - .offset:         96
        .size:           8
        .value_kind:     hidden_global_offset_y
      - .offset:         104
        .size:           8
        .value_kind:     hidden_global_offset_z
      - .offset:         112
        .size:           2
        .value_kind:     hidden_grid_dims
    .group_segment_fixed_size: 0
    .kernarg_segment_align: 8
    .kernarg_segment_size: 304
    .language:       OpenCL C
    .language_version:
      - 2
      - 0
    .max_flat_workgroup_size: 1024
    .name:           _Z18sequenceMaskKernelIiEviiiPKT_PKiS0_PS0_
    .private_segment_fixed_size: 0
    .sgpr_count:     28
    .sgpr_spill_count: 0
    .symbol:         _Z18sequenceMaskKernelIiEviiiPKT_PKiS0_PS0_.kd
    .uniform_work_group_size: 1
    .uses_dynamic_stack: false
    .vgpr_count:     13
    .vgpr_spill_count: 0
    .wavefront_size: 64
  - .args:
      - .offset:         0
        .size:           4
        .value_kind:     by_value
      - .offset:         4
        .size:           4
        .value_kind:     by_value
      - .offset:         8
        .size:           4
        .value_kind:     by_value
      - .address_space:  global
        .offset:         16
        .size:           8
        .value_kind:     global_buffer
      - .address_space:  global
        .offset:         24
        .size:           8
        .value_kind:     global_buffer
      - .offset:         32
        .size:           4
        .value_kind:     by_value
      - .offset:         36
        .size:           4
        .value_kind:     by_value
      - .address_space:  global
        .offset:         40
        .size:           8
        .value_kind:     global_buffer
      - .offset:         48
        .size:           4
        .value_kind:     hidden_block_count_x
      - .offset:         52
        .size:           4
        .value_kind:     hidden_block_count_y
      - .offset:         56
        .size:           4
        .value_kind:     hidden_block_count_z
      - .offset:         60
        .size:           2
        .value_kind:     hidden_group_size_x
      - .offset:         62
        .size:           2
        .value_kind:     hidden_group_size_y
      - .offset:         64
        .size:           2
        .value_kind:     hidden_group_size_z
      - .offset:         66
        .size:           2
        .value_kind:     hidden_remainder_x
      - .offset:         68
        .size:           2
        .value_kind:     hidden_remainder_y
      - .offset:         70
        .size:           2
        .value_kind:     hidden_remainder_z
      - .offset:         88
        .size:           8
        .value_kind:     hidden_global_offset_x
      - .offset:         96
        .size:           8
        .value_kind:     hidden_global_offset_y
      - .offset:         104
        .size:           8
        .value_kind:     hidden_global_offset_z
      - .offset:         112
        .size:           2
        .value_kind:     hidden_grid_dims
    .group_segment_fixed_size: 0
    .kernarg_segment_align: 8
    .kernarg_segment_size: 304
    .language:       OpenCL C
    .language_version:
      - 2
      - 0
    .max_flat_workgroup_size: 1024
    .name:           _Z16windowMaskKernelIiEviiiPKT_PKiiS0_PS0_
    .private_segment_fixed_size: 0
    .sgpr_count:     32
    .sgpr_spill_count: 0
    .symbol:         _Z16windowMaskKernelIiEviiiPKT_PKiiS0_PS0_.kd
    .uniform_work_group_size: 1
    .uses_dynamic_stack: false
    .vgpr_count:     13
    .vgpr_spill_count: 0
    .wavefront_size: 64
  - .args:
      - .offset:         0
        .size:           4
        .value_kind:     by_value
      - .offset:         4
        .size:           4
        .value_kind:     by_value
      - .offset:         8
        .size:           4
        .value_kind:     by_value
      - .address_space:  global
        .offset:         16
        .size:           8
        .value_kind:     global_buffer
      - .offset:         24
        .size:           4
        .value_kind:     by_value
      - .address_space:  global
        .offset:         32
        .size:           8
        .value_kind:     global_buffer
      - .offset:         40
        .size:           4
        .value_kind:     hidden_block_count_x
      - .offset:         44
        .size:           4
        .value_kind:     hidden_block_count_y
      - .offset:         48
        .size:           4
        .value_kind:     hidden_block_count_z
      - .offset:         52
        .size:           2
        .value_kind:     hidden_group_size_x
      - .offset:         54
        .size:           2
        .value_kind:     hidden_group_size_y
      - .offset:         56
        .size:           2
        .value_kind:     hidden_group_size_z
      - .offset:         58
        .size:           2
        .value_kind:     hidden_remainder_x
      - .offset:         60
        .size:           2
        .value_kind:     hidden_remainder_y
      - .offset:         62
        .size:           2
        .value_kind:     hidden_remainder_z
      - .offset:         80
        .size:           8
        .value_kind:     hidden_global_offset_x
      - .offset:         88
        .size:           8
        .value_kind:     hidden_global_offset_y
      - .offset:         96
        .size:           8
        .value_kind:     hidden_global_offset_z
      - .offset:         104
        .size:           2
        .value_kind:     hidden_grid_dims
    .group_segment_fixed_size: 0
    .kernarg_segment_align: 8
    .kernarg_segment_size: 296
    .language:       OpenCL C
    .language_version:
      - 2
      - 0
    .max_flat_workgroup_size: 1024
    .name:           _Z15upperMaskKernelIiEviiiPKT_S0_PS0_
    .private_segment_fixed_size: 0
    .sgpr_count:     26
    .sgpr_spill_count: 0
    .symbol:         _Z15upperMaskKernelIiEviiiPKT_S0_PS0_.kd
    .uniform_work_group_size: 1
    .uses_dynamic_stack: false
    .vgpr_count:     13
    .vgpr_spill_count: 0
    .wavefront_size: 64
  - .args:
      - .offset:         0
        .size:           4
        .value_kind:     by_value
      - .offset:         4
        .size:           4
        .value_kind:     by_value
      - .offset:         8
        .size:           4
        .value_kind:     by_value
      - .address_space:  global
        .offset:         16
        .size:           8
        .value_kind:     global_buffer
      - .offset:         24
        .size:           4
        .value_kind:     by_value
      - .address_space:  global
        .offset:         32
        .size:           8
        .value_kind:     global_buffer
      - .offset:         40
        .size:           4
        .value_kind:     hidden_block_count_x
      - .offset:         44
        .size:           4
        .value_kind:     hidden_block_count_y
      - .offset:         48
        .size:           4
        .value_kind:     hidden_block_count_z
      - .offset:         52
        .size:           2
        .value_kind:     hidden_group_size_x
      - .offset:         54
        .size:           2
        .value_kind:     hidden_group_size_y
      - .offset:         56
        .size:           2
        .value_kind:     hidden_group_size_z
      - .offset:         58
        .size:           2
        .value_kind:     hidden_remainder_x
      - .offset:         60
        .size:           2
        .value_kind:     hidden_remainder_y
      - .offset:         62
        .size:           2
        .value_kind:     hidden_remainder_z
      - .offset:         80
        .size:           8
        .value_kind:     hidden_global_offset_x
      - .offset:         88
        .size:           8
        .value_kind:     hidden_global_offset_y
      - .offset:         96
        .size:           8
        .value_kind:     hidden_global_offset_z
      - .offset:         104
        .size:           2
        .value_kind:     hidden_grid_dims
    .group_segment_fixed_size: 0
    .kernarg_segment_align: 8
    .kernarg_segment_size: 296
    .language:       OpenCL C
    .language_version:
      - 2
      - 0
    .max_flat_workgroup_size: 1024
    .name:           _Z15lowerMaskKernelIiEviiiPKT_S0_PS0_
    .private_segment_fixed_size: 0
    .sgpr_count:     26
    .sgpr_spill_count: 0
    .symbol:         _Z15lowerMaskKernelIiEviiiPKT_S0_PS0_.kd
    .uniform_work_group_size: 1
    .uses_dynamic_stack: false
    .vgpr_count:     13
    .vgpr_spill_count: 0
    .wavefront_size: 64
  - .args:
      - .offset:         0
        .size:           4
        .value_kind:     by_value
      - .offset:         4
        .size:           4
        .value_kind:     by_value
      - .offset:         8
        .size:           4
        .value_kind:     by_value
      - .address_space:  global
        .offset:         16
        .size:           8
        .value_kind:     global_buffer
      - .offset:         24
        .size:           4
        .value_kind:     by_value
      - .address_space:  global
        .offset:         32
        .size:           8
        .value_kind:     global_buffer
      - .offset:         40
        .size:           4
        .value_kind:     hidden_block_count_x
      - .offset:         44
        .size:           4
        .value_kind:     hidden_block_count_y
      - .offset:         48
        .size:           4
        .value_kind:     hidden_block_count_z
      - .offset:         52
        .size:           2
        .value_kind:     hidden_group_size_x
      - .offset:         54
        .size:           2
        .value_kind:     hidden_group_size_y
      - .offset:         56
        .size:           2
        .value_kind:     hidden_group_size_z
      - .offset:         58
        .size:           2
        .value_kind:     hidden_remainder_x
      - .offset:         60
        .size:           2
        .value_kind:     hidden_remainder_y
      - .offset:         62
        .size:           2
        .value_kind:     hidden_remainder_z
      - .offset:         80
        .size:           8
        .value_kind:     hidden_global_offset_x
      - .offset:         88
        .size:           8
        .value_kind:     hidden_global_offset_y
      - .offset:         96
        .size:           8
        .value_kind:     hidden_global_offset_z
      - .offset:         104
        .size:           2
        .value_kind:     hidden_grid_dims
    .group_segment_fixed_size: 0
    .kernarg_segment_align: 8
    .kernarg_segment_size: 296
    .language:       OpenCL C
    .language_version:
      - 2
      - 0
    .max_flat_workgroup_size: 1024
    .name:           _Z19upperDiagMaskKernelIiEviiiPKT_S0_PS0_
    .private_segment_fixed_size: 0
    .sgpr_count:     26
    .sgpr_spill_count: 0
    .symbol:         _Z19upperDiagMaskKernelIiEviiiPKT_S0_PS0_.kd
    .uniform_work_group_size: 1
    .uses_dynamic_stack: false
    .vgpr_count:     13
    .vgpr_spill_count: 0
    .wavefront_size: 64
  - .args:
      - .offset:         0
        .size:           4
        .value_kind:     by_value
      - .offset:         4
        .size:           4
        .value_kind:     by_value
      - .offset:         8
        .size:           4
        .value_kind:     by_value
      - .address_space:  global
        .offset:         16
        .size:           8
        .value_kind:     global_buffer
      - .offset:         24
        .size:           4
        .value_kind:     by_value
      - .address_space:  global
        .offset:         32
        .size:           8
        .value_kind:     global_buffer
      - .offset:         40
        .size:           4
        .value_kind:     hidden_block_count_x
      - .offset:         44
        .size:           4
        .value_kind:     hidden_block_count_y
      - .offset:         48
        .size:           4
        .value_kind:     hidden_block_count_z
      - .offset:         52
        .size:           2
        .value_kind:     hidden_group_size_x
      - .offset:         54
        .size:           2
        .value_kind:     hidden_group_size_y
      - .offset:         56
        .size:           2
        .value_kind:     hidden_group_size_z
      - .offset:         58
        .size:           2
        .value_kind:     hidden_remainder_x
      - .offset:         60
        .size:           2
        .value_kind:     hidden_remainder_y
      - .offset:         62
        .size:           2
        .value_kind:     hidden_remainder_z
      - .offset:         80
        .size:           8
        .value_kind:     hidden_global_offset_x
      - .offset:         88
        .size:           8
        .value_kind:     hidden_global_offset_y
      - .offset:         96
        .size:           8
        .value_kind:     hidden_global_offset_z
      - .offset:         104
        .size:           2
        .value_kind:     hidden_grid_dims
    .group_segment_fixed_size: 0
    .kernarg_segment_align: 8
    .kernarg_segment_size: 296
    .language:       OpenCL C
    .language_version:
      - 2
      - 0
    .max_flat_workgroup_size: 1024
    .name:           _Z19lowerDiagMaskKernelIiEviiiPKT_S0_PS0_
    .private_segment_fixed_size: 0
    .sgpr_count:     26
    .sgpr_spill_count: 0
    .symbol:         _Z19lowerDiagMaskKernelIiEviiiPKT_S0_PS0_.kd
    .uniform_work_group_size: 1
    .uses_dynamic_stack: false
    .vgpr_count:     13
    .vgpr_spill_count: 0
    .wavefront_size: 64
amdhsa.target:   amdgcn-amd-amdhsa--gfx906
amdhsa.version:
  - 1
  - 2
...

	.end_amdgpu_metadata
